;; amdgpu-corpus repo=ROCm/rocFFT kind=compiled arch=gfx906 opt=O3
	.text
	.amdgcn_target "amdgcn-amd-amdhsa--gfx906"
	.amdhsa_code_object_version 6
	.protected	bluestein_single_back_len1188_dim1_sp_op_CI_CI ; -- Begin function bluestein_single_back_len1188_dim1_sp_op_CI_CI
	.globl	bluestein_single_back_len1188_dim1_sp_op_CI_CI
	.p2align	8
	.type	bluestein_single_back_len1188_dim1_sp_op_CI_CI,@function
bluestein_single_back_len1188_dim1_sp_op_CI_CI: ; @bluestein_single_back_len1188_dim1_sp_op_CI_CI
; %bb.0:
	v_mul_u32_u24_e32 v1, 0x3e1, v0
	s_load_dwordx4 s[16:19], s[4:5], 0x28
	v_lshrrev_b32_e32 v1, 16, v1
	v_mad_u64_u32 v[140:141], s[0:1], s6, 3, v[1:2]
	v_mov_b32_e32 v141, 0
	s_waitcnt lgkmcnt(0)
	v_cmp_gt_u64_e32 vcc, s[16:17], v[140:141]
	s_and_saveexec_b64 s[0:1], vcc
	s_cbranch_execz .LBB0_10
; %bb.1:
	s_load_dwordx4 s[12:15], s[4:5], 0x18
	s_load_dwordx4 s[8:11], s[4:5], 0x0
	v_mul_lo_u16_e32 v1, 0x42, v1
	v_sub_u16_e32 v179, v0, v1
	v_lshlrev_b32_e32 v88, 3, v179
	s_waitcnt lgkmcnt(0)
	s_load_dwordx4 s[0:3], s[12:13], 0x0
	global_load_dwordx2 v[147:148], v88, s[8:9]
	v_mov_b32_e32 v7, s9
	s_movk_i32 s17, 0x1000
	v_mov_b32_e32 v26, 0xffffe320
	s_waitcnt lgkmcnt(0)
	v_mad_u64_u32 v[0:1], s[6:7], s2, v140, 0
	v_mad_u64_u32 v[2:3], s[6:7], s0, v179, 0
	s_mul_hi_u32 s13, s0, 0x630
	s_mul_i32 s16, s0, 0x630
	v_mad_u64_u32 v[4:5], s[2:3], s3, v140, v[1:2]
	s_movk_i32 s12, 0x42
                                        ; implicit-def: $vgpr76
                                        ; implicit-def: $vgpr78
                                        ; implicit-def: $vgpr84
	v_mad_u64_u32 v[5:6], s[2:3], s1, v179, v[3:4]
	v_mov_b32_e32 v1, v4
	v_lshlrev_b64 v[0:1], 3, v[0:1]
	v_mov_b32_e32 v6, s19
	v_mov_b32_e32 v3, v5
	v_add_co_u32_e32 v4, vcc, s18, v0
	v_addc_co_u32_e32 v5, vcc, v6, v1, vcc
	v_lshlrev_b64 v[0:1], 3, v[2:3]
	s_mul_i32 s2, s1, 0x630
	v_add_co_u32_e32 v0, vcc, v4, v0
	v_addc_co_u32_e32 v1, vcc, v5, v1, vcc
	s_add_i32 s13, s13, s2
	global_load_dwordx2 v[2:3], v[0:1], off
	v_mov_b32_e32 v4, s13
	v_add_co_u32_e32 v0, vcc, s16, v0
	v_addc_co_u32_e32 v1, vcc, v1, v4, vcc
	global_load_dwordx2 v[143:144], v88, s[8:9] offset:1584
	global_load_dwordx2 v[4:5], v[0:1], off
	s_load_dwordx2 s[2:3], s[4:5], 0x38
	s_mov_b32 s4, 0xaaaaaaab
	v_mul_hi_u32 v6, v140, s4
	v_add_co_u32_e32 v27, vcc, s8, v88
	v_addc_co_u32_e32 v28, vcc, 0, v7, vcc
	v_lshrrev_b32_e32 v6, 1, v6
	v_lshl_add_u32 v6, v6, 1, v6
	v_sub_u32_e32 v8, v140, v6
	v_add_co_u32_e32 v6, vcc, s17, v27
	v_addc_co_u32_e32 v7, vcc, 0, v28, vcc
	v_mul_u32_u24_e32 v89, 0x4a4, v8
	v_mov_b32_e32 v8, s13
	v_add_co_u32_e32 v0, vcc, s16, v0
	v_addc_co_u32_e32 v1, vcc, v1, v8, vcc
	v_mov_b32_e32 v9, s13
	v_add_co_u32_e32 v8, vcc, s16, v0
	v_addc_co_u32_e32 v9, vcc, v1, v9, vcc
	;; [unrolled: 3-line block ×4, first 2 shown]
	s_load_dwordx4 s[4:7], s[14:15], 0x0
	v_mad_u64_u32 v[14:15], s[14:15], s0, v26, v[12:13]
	global_load_dwordx2 v[151:152], v88, s[8:9] offset:3168
	global_load_dwordx2 v[134:135], v88, s[8:9] offset:528
	global_load_dwordx2 v[124:125], v88, s[8:9] offset:1056
	global_load_dwordx2 v[159:160], v[6:7], off offset:656
	global_load_dwordx2 v[157:158], v[6:7], off offset:2240
	global_load_dwordx2 v[155:156], v[6:7], off offset:3824
	s_mulk_i32 s1, 0xe320
	global_load_dwordx2 v[16:17], v[0:1], off
	global_load_dwordx2 v[18:19], v[8:9], off
	;; [unrolled: 1-line block ×4, first 2 shown]
	v_lshlrev_b32_e32 v181, 3, v89
	s_sub_i32 s17, s1, s0
	v_add_u32_e32 v180, v88, v181
	v_add_u32_e32 v15, s17, v15
	v_mov_b32_e32 v10, s13
	v_mov_b32_e32 v12, s13
	v_mov_b32_e32 v24, s13
	s_movk_i32 s14, 0x2000
	v_mov_b32_e32 v30, s13
	v_mov_b32_e32 v32, s13
	;; [unrolled: 1-line block ×4, first 2 shown]
	v_add_u32_e32 v62, 0x1000, v180
	v_add_u32_e32 v74, 0x1800, v180
	s_waitcnt vmcnt(12)
	v_mul_f32_e32 v0, v3, v148
	v_mul_f32_e32 v1, v2, v148
	v_fmac_f32_e32 v0, v2, v147
	v_fma_f32 v1, v3, v147, -v1
	s_waitcnt vmcnt(10)
	v_mul_f32_e32 v2, v5, v144
	v_mul_f32_e32 v3, v4, v144
	v_fmac_f32_e32 v2, v4, v143
	v_fma_f32 v3, v5, v143, -v3
	v_mov_b32_e32 v5, s13
	v_add_co_u32_e32 v4, vcc, s16, v14
	ds_write_b64 v180, v[2:3] offset:1584
	v_addc_co_u32_e32 v5, vcc, v15, v5, vcc
	global_load_dwordx2 v[2:3], v[14:15], off
	global_load_dwordx2 v[8:9], v[4:5], off
	global_load_dwordx2 v[153:154], v88, s[8:9] offset:2112
	v_add_co_u32_e32 v4, vcc, s16, v4
	v_addc_co_u32_e32 v5, vcc, v5, v10, vcc
	global_load_dwordx2 v[10:11], v[4:5], off
	global_load_dwordx2 v[149:150], v88, s[8:9] offset:3696
	v_add_co_u32_e32 v4, vcc, s16, v4
	v_addc_co_u32_e32 v5, vcc, v5, v12, vcc
	global_load_dwordx2 v[12:13], v[4:5], off
	global_load_dwordx2 v[145:146], v[6:7], off offset:1184
	v_mov_b32_e32 v14, s13
	v_add_co_u32_e32 v4, vcc, s16, v4
	v_addc_co_u32_e32 v5, vcc, v5, v14, vcc
	global_load_dwordx2 v[14:15], v[4:5], off
	global_load_dwordx2 v[141:142], v[6:7], off offset:2768
	v_add_co_u32_e32 v4, vcc, s16, v4
	v_addc_co_u32_e32 v5, vcc, v5, v24, vcc
	global_load_dwordx2 v[24:25], v[4:5], off
	v_mad_u64_u32 v[4:5], s[0:1], s0, v26, v[4:5]
	v_add_co_u32_e32 v26, vcc, s14, v27
	v_addc_co_u32_e32 v27, vcc, 0, v28, vcc
	global_load_dwordx2 v[138:139], v[26:27], off offset:256
	v_add_u32_e32 v5, s17, v5
	global_load_dwordx2 v[28:29], v[4:5], off
	v_add_co_u32_e32 v4, vcc, s16, v4
	v_addc_co_u32_e32 v5, vcc, v5, v30, vcc
	global_load_dwordx2 v[30:31], v[4:5], off
	global_load_dwordx2 v[132:133], v88, s[8:9] offset:2640
	v_add_co_u32_e32 v4, vcc, s16, v4
	v_addc_co_u32_e32 v5, vcc, v5, v32, vcc
	global_load_dwordx2 v[32:33], v[4:5], off
	global_load_dwordx2 v[130:131], v[6:7], off offset:1712
	global_load_dwordx2 v[136:137], v[6:7], off offset:128
	v_add_co_u32_e32 v4, vcc, s16, v4
	v_addc_co_u32_e32 v5, vcc, v5, v34, vcc
	global_load_dwordx2 v[34:35], v[4:5], off
	v_add_co_u32_e32 v4, vcc, s16, v4
	v_addc_co_u32_e32 v5, vcc, v5, v36, vcc
	global_load_dwordx2 v[36:37], v[4:5], off
	global_load_dwordx2 v[128:129], v[6:7], off offset:3296
	v_mov_b32_e32 v6, s13
	v_add_co_u32_e32 v4, vcc, s16, v4
	v_addc_co_u32_e32 v5, vcc, v5, v6, vcc
	global_load_dwordx2 v[6:7], v[4:5], off
	global_load_dwordx2 v[126:127], v[26:27], off offset:784
	s_waitcnt vmcnt(25)
	v_mul_f32_e32 v4, v17, v152
	v_mul_f32_e32 v5, v16, v152
	v_fmac_f32_e32 v4, v16, v151
	v_fma_f32 v5, v17, v151, -v5
	ds_write_b64 v180, v[4:5] offset:3168
	s_waitcnt vmcnt(24)
	v_mul_f32_e32 v4, v19, v160
	v_mul_f32_e32 v5, v18, v160
	v_fmac_f32_e32 v4, v18, v159
	v_fma_f32 v5, v19, v159, -v5
	ds_write_b64 v180, v[4:5] offset:4752
	;; [unrolled: 6-line block ×4, first 2 shown]
	v_add_co_u32_e32 v87, vcc, s12, v179
	s_waitcnt vmcnt(21)
	v_mul_f32_e32 v4, v3, v135
	v_fmac_f32_e32 v4, v2, v134
	v_mul_f32_e32 v2, v2, v135
	v_fma_f32 v5, v3, v134, -v2
	ds_write2_b64 v180, v[0:1], v[4:5] offset1:66
	s_waitcnt vmcnt(19)
	v_mul_f32_e32 v0, v8, v154
	v_fma_f32 v3, v9, v153, -v0
	s_waitcnt vmcnt(17)
	v_mul_f32_e32 v0, v10, v150
	v_fma_f32 v5, v11, v149, -v0
	v_mul_f32_e32 v2, v9, v154
	v_mul_f32_e32 v4, v11, v150
	s_waitcnt vmcnt(15)
	v_mul_f32_e32 v0, v12, v146
	v_fma_f32 v9, v13, v145, -v0
	v_fmac_f32_e32 v2, v8, v153
	v_mul_f32_e32 v8, v13, v146
	v_fmac_f32_e32 v4, v10, v149
	v_fmac_f32_e32 v8, v12, v145
	s_waitcnt vmcnt(13)
	v_mul_f32_e32 v0, v14, v142
	v_fma_f32 v11, v15, v141, -v0
	v_mul_f32_e32 v10, v15, v142
	v_fmac_f32_e32 v10, v14, v141
	s_movk_i32 s0, 0x84
	v_add_co_u32_e32 v86, vcc, s0, v179
	v_cmp_gt_u16_e64 s[0:1], 42, v179
	s_waitcnt vmcnt(11)
	v_mul_f32_e32 v0, v24, v139
	v_fma_f32 v13, v25, v138, -v0
	s_waitcnt vmcnt(10)
	v_mul_f32_e32 v0, v29, v125
	v_mul_f32_e32 v1, v28, v125
	v_fmac_f32_e32 v0, v28, v124
	v_fma_f32 v1, v29, v124, -v1
	ds_write_b64 v180, v[0:1] offset:1056
	s_waitcnt vmcnt(8)
	v_mul_f32_e32 v14, v31, v133
	v_mul_f32_e32 v0, v30, v133
	v_fmac_f32_e32 v14, v30, v132
	v_fma_f32 v15, v31, v132, -v0
	v_add_u32_e32 v1, 0x800, v180
	ds_write2_b64 v1, v[2:3], v[14:15] offset0:8 offset1:74
	s_waitcnt vmcnt(5)
	v_mul_f32_e32 v2, v33, v137
	v_mul_f32_e32 v0, v32, v137
	v_fmac_f32_e32 v2, v32, v136
	v_fma_f32 v3, v33, v136, -v0
	v_add_u32_e32 v0, 0xc00, v180
	ds_write2_b64 v0, v[4:5], v[2:3] offset0:78 offset1:144
	s_waitcnt vmcnt(4)
	v_mul_f32_e32 v2, v35, v131
	v_mul_f32_e32 v3, v34, v131
	v_fmac_f32_e32 v2, v34, v130
	v_fma_f32 v3, v35, v130, -v3
	ds_write2_b64 v62, v[8:9], v[2:3] offset0:148 offset1:214
	s_waitcnt vmcnt(2)
	v_mul_f32_e32 v2, v37, v129
	v_mul_f32_e32 v3, v36, v129
	v_fmac_f32_e32 v2, v36, v128
	v_fma_f32 v3, v37, v128, -v3
	v_mul_f32_e32 v12, v25, v139
	ds_write2_b64 v74, v[10:11], v[2:3] offset0:90 offset1:156
	s_waitcnt vmcnt(0)
	v_mul_f32_e32 v2, v7, v127
	v_mul_f32_e32 v3, v6, v127
	v_fmac_f32_e32 v12, v24, v138
	v_fmac_f32_e32 v2, v6, v126
	v_fma_f32 v3, v7, v126, -v3
	v_add_u32_e32 v34, 0x2000, v180
	ds_write2_b64 v34, v[12:13], v[2:3] offset0:32 offset1:98
	s_waitcnt lgkmcnt(0)
	s_barrier
	ds_read2_b64 v[2:5], v180 offset1:66
	ds_read2_b64 v[6:9], v180 offset0:132 offset1:198
	ds_read2_b64 v[10:13], v1 offset0:140 offset1:206
	;; [unrolled: 1-line block ×8, first 2 shown]
	s_waitcnt lgkmcnt(4)
	v_add_f32_e32 v39, v10, v18
	v_add_f32_e32 v38, v2, v10
	v_fma_f32 v2, -0.5, v39, v2
	v_sub_f32_e32 v39, v11, v19
	v_mov_b32_e32 v40, v2
	v_fmac_f32_e32 v40, 0x3f5db3d7, v39
	v_fmac_f32_e32 v2, 0xbf5db3d7, v39
	v_add_f32_e32 v39, v3, v11
	v_add_f32_e32 v11, v11, v19
	v_fma_f32 v3, -0.5, v11, v3
	v_sub_f32_e32 v10, v10, v18
	v_mov_b32_e32 v41, v3
	v_fmac_f32_e32 v41, 0xbf5db3d7, v10
	v_fmac_f32_e32 v3, 0x3f5db3d7, v10
	v_add_f32_e32 v10, v8, v16
	v_add_f32_e32 v38, v38, v18
	s_waitcnt lgkmcnt(3)
	v_add_f32_e32 v18, v10, v24
	v_add_f32_e32 v10, v16, v24
	;; [unrolled: 1-line block ×3, first 2 shown]
	v_fma_f32 v19, -0.5, v10, v8
	v_sub_f32_e32 v8, v17, v25
	v_mov_b32_e32 v11, v19
	v_fmac_f32_e32 v11, 0x3f5db3d7, v8
	v_fmac_f32_e32 v19, 0xbf5db3d7, v8
	v_add_f32_e32 v8, v9, v17
	v_add_f32_e32 v43, v8, v25
	;; [unrolled: 1-line block ×3, first 2 shown]
	v_fma_f32 v17, -0.5, v8, v9
	v_sub_f32_e32 v8, v16, v24
	v_mov_b32_e32 v24, v17
	v_fmac_f32_e32 v24, 0xbf5db3d7, v8
	v_fmac_f32_e32 v17, 0x3f5db3d7, v8
	v_mul_f32_e32 v45, 0xbf5db3d7, v11
	v_mul_f32_e32 v25, 0x3f5db3d7, v24
	v_fmac_f32_e32 v45, 0.5, v24
	v_mul_f32_e32 v24, -0.5, v17
	v_mul_f32_e32 v44, -0.5, v19
	v_fmac_f32_e32 v24, 0xbf5db3d7, v19
	v_fmac_f32_e32 v25, 0.5, v11
	v_fmac_f32_e32 v44, 0x3f5db3d7, v17
	v_add_f32_e32 v9, v39, v43
	v_add_f32_e32 v11, v41, v45
	;; [unrolled: 1-line block ×3, first 2 shown]
	v_sub_f32_e32 v19, v39, v43
	v_sub_f32_e32 v43, v41, v45
	;; [unrolled: 1-line block ×3, first 2 shown]
	v_add_f32_e32 v3, v12, v20
	v_fma_f32 v3, -0.5, v3, v4
	v_add_f32_e32 v8, v38, v18
	v_add_f32_e32 v16, v2, v44
	v_sub_f32_e32 v18, v38, v18
	v_sub_f32_e32 v44, v2, v44
	v_add_f32_e32 v2, v4, v12
	v_sub_f32_e32 v4, v13, v21
	v_mov_b32_e32 v38, v3
	v_add_f32_e32 v2, v2, v20
	v_fmac_f32_e32 v38, 0x3f5db3d7, v4
	v_fmac_f32_e32 v3, 0xbf5db3d7, v4
	v_add_f32_e32 v4, v5, v13
	v_add_f32_e32 v13, v13, v21
	v_sub_f32_e32 v12, v12, v20
	s_waitcnt lgkmcnt(0)
	v_add_f32_e32 v20, v30, v34
	v_fmac_f32_e32 v5, -0.5, v13
	v_fma_f32 v20, -0.5, v20, v26
	v_add_f32_e32 v4, v4, v21
	v_mov_b32_e32 v13, v5
	v_sub_f32_e32 v21, v31, v35
	v_mov_b32_e32 v39, v20
	v_add_f32_e32 v24, v31, v35
	v_fmac_f32_e32 v13, 0xbf5db3d7, v12
	v_fmac_f32_e32 v5, 0x3f5db3d7, v12
	v_add_f32_e32 v12, v26, v30
	v_fmac_f32_e32 v39, 0x3f5db3d7, v21
	v_fmac_f32_e32 v20, 0xbf5db3d7, v21
	v_add_f32_e32 v21, v27, v31
	v_fma_f32 v31, -0.5, v24, v27
	v_sub_f32_e32 v24, v30, v34
	v_add_f32_e32 v12, v12, v34
	v_mov_b32_e32 v27, v31
	v_fmac_f32_e32 v31, 0x3f5db3d7, v24
	v_mul_f32_e32 v34, -0.5, v20
	v_add_f32_e32 v21, v21, v35
	v_fmac_f32_e32 v27, 0xbf5db3d7, v24
	v_fmac_f32_e32 v34, 0x3f5db3d7, v31
	v_mul_f32_e32 v35, 0xbf5db3d7, v39
	v_add_f32_e32 v10, v40, v25
	v_sub_f32_e32 v42, v40, v25
	v_mul_f32_e32 v30, 0x3f5db3d7, v27
	v_add_f32_e32 v58, v3, v34
	v_fmac_f32_e32 v35, 0.5, v27
	v_mul_f32_e32 v31, -0.5, v31
	v_sub_f32_e32 v40, v3, v34
	v_add_f32_e32 v3, v14, v22
	v_fmac_f32_e32 v30, 0.5, v39
	v_add_f32_e32 v27, v13, v35
	v_fmac_f32_e32 v31, 0xbf5db3d7, v20
	v_sub_f32_e32 v39, v13, v35
	v_fma_f32 v3, -0.5, v3, v6
	v_add_f32_e32 v13, v32, v36
	v_add_f32_e32 v24, v2, v12
	;; [unrolled: 1-line block ×4, first 2 shown]
	v_sub_f32_e32 v60, v2, v12
	v_sub_f32_e32 v61, v4, v21
	;; [unrolled: 1-line block ×3, first 2 shown]
	v_add_f32_e32 v2, v6, v14
	v_sub_f32_e32 v4, v15, v23
	v_mov_b32_e32 v5, v3
	v_add_f32_e32 v6, v15, v23
	v_fma_f32 v13, -0.5, v13, v28
	v_fmac_f32_e32 v5, 0x3f5db3d7, v4
	v_fmac_f32_e32 v3, 0xbf5db3d7, v4
	v_add_f32_e32 v4, v7, v15
	v_fmac_f32_e32 v7, -0.5, v6
	v_sub_f32_e32 v6, v14, v22
	v_sub_f32_e32 v14, v33, v37
	v_mov_b32_e32 v15, v13
	v_add_f32_e32 v20, v33, v37
	v_mov_b32_e32 v12, v7
	v_fmac_f32_e32 v15, 0x3f5db3d7, v14
	v_fmac_f32_e32 v13, 0xbf5db3d7, v14
	v_add_f32_e32 v14, v29, v33
	v_fmac_f32_e32 v29, -0.5, v20
	v_fmac_f32_e32 v12, 0xbf5db3d7, v6
	v_fmac_f32_e32 v7, 0x3f5db3d7, v6
	v_add_f32_e32 v6, v28, v32
	v_sub_f32_e32 v20, v32, v36
	v_mov_b32_e32 v21, v29
	v_add_f32_e32 v2, v2, v22
	v_add_f32_e32 v6, v6, v36
	v_fmac_f32_e32 v21, 0xbf5db3d7, v20
	v_fmac_f32_e32 v29, 0x3f5db3d7, v20
	v_add_f32_e32 v54, v2, v6
	v_mul_f32_e32 v20, 0x3f5db3d7, v21
	v_sub_f32_e32 v52, v2, v6
	v_mul_lo_u16_e32 v2, 6, v179
	v_fmac_f32_e32 v20, 0.5, v15
	v_mul_f32_e32 v15, 0xbf5db3d7, v15
	v_lshl_add_u32 v104, v2, 3, v181
	v_mul_u32_u24_e32 v2, 6, v87
	v_add_f32_e32 v4, v4, v23
	v_add_f32_e32 v14, v14, v37
	v_mul_f32_e32 v22, -0.5, v13
	v_fmac_f32_e32 v15, 0.5, v21
	v_mul_f32_e32 v21, -0.5, v29
	v_lshl_add_u32 v105, v2, 3, v181
	v_mul_u32_u24_e32 v2, 6, v86
	v_add_f32_e32 v26, v38, v30
	v_add_f32_e32 v56, v5, v20
	v_fmac_f32_e32 v22, 0x3f5db3d7, v29
	v_add_f32_e32 v55, v4, v14
	v_add_f32_e32 v57, v12, v15
	v_fmac_f32_e32 v21, 0xbf5db3d7, v13
	v_lshl_add_u32 v106, v2, 3, v181
	v_add_u32_e32 v2, 0x400, v180
	v_sub_f32_e32 v38, v38, v30
	v_add_f32_e32 v50, v3, v22
	v_add_f32_e32 v51, v7, v21
	v_sub_f32_e32 v46, v5, v20
	v_sub_f32_e32 v48, v3, v22
	;; [unrolled: 1-line block ×5, first 2 shown]
	s_barrier
	ds_write_b128 v104, v[8:11]
	ds_write_b128 v104, v[16:19] offset:16
	ds_write_b128 v104, v[42:45] offset:32
	ds_write_b128 v105, v[24:27]
	ds_write_b128 v105, v[58:61] offset:16
	ds_write_b128 v105, v[38:41] offset:32
	;; [unrolled: 3-line block ×3, first 2 shown]
	s_waitcnt lgkmcnt(0)
	s_barrier
	ds_read2_b64 v[42:45], v180 offset1:108
	ds_read2_b64 v[70:73], v2 offset0:88 offset1:196
	ds_read2_b64 v[66:69], v0 offset0:48 offset1:156
	;; [unrolled: 1-line block ×4, first 2 shown]
	ds_read_b64 v[82:83], v180 offset:8640
	s_and_saveexec_b64 s[12:13], s[0:1]
	s_cbranch_execz .LBB0_3
; %bb.2:
	ds_read2_b64 v[2:5], v180 offset0:66 offset1:174
	ds_read2_b64 v[6:9], v1 offset0:26 offset1:134
	v_add_u32_e32 v1, 0x1400, v180
	ds_read2_b64 v[74:77], v1 offset0:74 offset1:182
	ds_read2_b64 v[10:13], v0 offset0:114 offset1:222
	v_add_u32_e32 v0, 0x1c00, v180
	ds_read2_b64 v[78:81], v0 offset0:34 offset1:142
	ds_read_b64 v[84:85], v180 offset:9168
	s_waitcnt lgkmcnt(4)
	v_mov_b32_e32 v50, v8
	s_waitcnt lgkmcnt(3)
	v_mov_b32_e32 v48, v74
	v_mov_b32_e32 v49, v75
	s_waitcnt lgkmcnt(2)
	v_mov_b32_e32 v46, v12
	v_mov_b32_e32 v47, v13
	;; [unrolled: 1-line block ×11, first 2 shown]
.LBB0_3:
	s_or_b64 exec, exec, s[12:13]
	s_movk_i32 s12, 0xab
	v_mul_lo_u16_sdwa v0, v179, s12 dst_sel:DWORD dst_unused:UNUSED_PAD src0_sel:BYTE_0 src1_sel:DWORD
	v_mul_lo_u16_sdwa v2, v87, s12 dst_sel:DWORD dst_unused:UNUSED_PAD src0_sel:BYTE_0 src1_sel:DWORD
	v_lshrrev_b16_e32 v94, 10, v0
	v_lshrrev_b16_e32 v182, 10, v2
	v_mul_lo_u16_e32 v0, 6, v94
	v_mul_lo_u16_e32 v2, 6, v182
	v_sub_u16_e32 v95, v179, v0
	v_mov_b32_e32 v0, 10
	v_sub_u16_e32 v183, v87, v2
	v_mul_u32_u24_sdwa v1, v95, v0 dst_sel:DWORD dst_unused:UNUSED_PAD src0_sel:BYTE_0 src1_sel:DWORD
	v_mul_u32_u24_sdwa v0, v183, v0 dst_sel:DWORD dst_unused:UNUSED_PAD src0_sel:BYTE_0 src1_sel:DWORD
	v_lshlrev_b32_e32 v1, 3, v1
	v_lshlrev_b32_e32 v16, 3, v0
	global_load_dwordx4 v[32:35], v1, s[10:11]
	global_load_dwordx4 v[28:31], v1, s[10:11] offset:16
	global_load_dwordx4 v[24:27], v1, s[10:11] offset:32
	;; [unrolled: 1-line block ×4, first 2 shown]
	global_load_dwordx4 v[12:15], v16, s[10:11]
	global_load_dwordx4 v[8:11], v16, s[10:11] offset:16
	s_nop 0
	global_load_dwordx4 v[0:3], v16, s[10:11] offset:32
	global_load_dwordx4 v[4:7], v16, s[10:11] offset:48
	s_nop 0
	global_load_dwordx4 v[16:19], v16, s[10:11] offset:64
	s_mov_b32 s14, 0x3f575c64
	s_mov_b32 s15, 0x3ed4b147
	;; [unrolled: 1-line block ×5, first 2 shown]
	s_waitcnt vmcnt(0) lgkmcnt(0)
	s_barrier
	v_mul_f32_e32 v96, v45, v33
	v_mul_f32_e32 v97, v44, v33
	;; [unrolled: 1-line block ×9, first 2 shown]
	v_fmac_f32_e32 v90, v51, v8
	v_fma_f32 v51, v52, v10, -v122
	v_mul_f32_e32 v52, v81, v17
	v_mul_f32_e32 v98, v71, v35
	;; [unrolled: 1-line block ×5, first 2 shown]
	v_fmac_f32_e32 v110, v63, v26
	v_fma_f32 v63, v64, v20, -v111
	v_fma_f32 v64, v44, v32, -v96
	v_fmac_f32_e32 v97, v45, v32
	v_fma_f32 v45, v56, v14, -v120
	v_fma_f32 v56, v80, v16, -v52
	v_mul_f32_e32 v52, v85, v19
	v_mul_f32_e32 v99, v70, v35
	;; [unrolled: 1-line block ×3, first 2 shown]
	v_fma_f32 v70, v70, v34, -v98
	v_fmac_f32_e32 v75, v57, v14
	v_fma_f32 v57, v84, v18, -v52
	v_add_f32_e32 v52, v42, v64
	v_mul_f32_e32 v102, v67, v31
	v_fmac_f32_e32 v99, v71, v34
	v_fma_f32 v71, v72, v28, -v100
	v_add_f32_e32 v52, v52, v70
	v_mul_f32_e32 v103, v66, v31
	v_mul_f32_e32 v107, v69, v25
	v_fma_f32 v66, v66, v30, -v102
	v_add_f32_e32 v52, v52, v71
	v_fmac_f32_e32 v103, v67, v30
	v_fma_f32 v67, v68, v24, -v107
	v_add_f32_e32 v52, v52, v66
	v_fma_f32 v62, v62, v26, -v109
	v_add_f32_e32 v52, v52, v67
	v_mul_f32_e32 v113, v59, v23
	v_add_f32_e32 v52, v52, v62
	v_mul_f32_e32 v108, v68, v25
	v_mul_f32_e32 v115, v61, v37
	;; [unrolled: 1-line block ×3, first 2 shown]
	v_fmac_f32_e32 v112, v65, v20
	v_fma_f32 v65, v58, v22, -v113
	v_add_f32_e32 v52, v52, v63
	v_mul_f32_e32 v118, v82, v39
	v_mul_f32_e32 v119, v55, v13
	v_fmac_f32_e32 v108, v69, v24
	v_fma_f32 v68, v60, v36, -v115
	v_fma_f32 v69, v82, v38, -v117
	v_add_f32_e32 v52, v52, v65
	v_mul_f32_e32 v116, v60, v37
	v_mul_f32_e32 v74, v54, v13
	;; [unrolled: 1-line block ×6, first 2 shown]
	v_fmac_f32_e32 v118, v83, v38
	v_fma_f32 v44, v54, v12, -v119
	v_add_f32_e32 v52, v52, v68
	v_add_f32_e32 v54, v64, v69
	v_sub_f32_e32 v64, v64, v69
	v_mul_f32_e32 v114, v58, v23
	v_mul_f32_e32 v123, v47, v1
	v_fmac_f32_e32 v116, v61, v36
	v_fmac_f32_e32 v92, v47, v0
	v_fma_f32 v47, v48, v2, -v161
	v_fmac_f32_e32 v93, v49, v2
	v_fma_f32 v48, v76, v4, -v162
	v_mul_f32_e32 v58, v76, v5
	v_mul_f32_e32 v49, v79, v7
	;; [unrolled: 1-line block ×4, first 2 shown]
	v_add_f32_e32 v52, v52, v69
	v_sub_f32_e32 v69, v97, v118
	v_mul_f32_e32 v76, 0xbf0a6770, v64
	v_mul_f32_e32 v80, 0xbf68dda4, v64
	;; [unrolled: 1-line block ×6, first 2 shown]
	v_fmac_f32_e32 v114, v59, v22
	v_fmac_f32_e32 v74, v55, v12
	;; [unrolled: 1-line block ×3, first 2 shown]
	v_fma_f32 v49, v78, v6, -v49
	v_mul_f32_e32 v59, v78, v7
	v_fmac_f32_e32 v60, v81, v16
	v_fmac_f32_e32 v61, v85, v18
	v_add_f32_e32 v55, v97, v118
	v_mul_f32_e32 v72, 0xbf0a6770, v69
	v_mov_b32_e32 v77, v76
	v_mul_f32_e32 v78, 0xbf68dda4, v69
	v_mov_b32_e32 v81, v80
	;; [unrolled: 2-line block ×5, first 2 shown]
	v_fmac_f32_e32 v101, v73, v28
	v_fmac_f32_e32 v91, v53, v10
	;; [unrolled: 1-line block ×3, first 2 shown]
	v_add_f32_e32 v53, v43, v97
	v_fma_f32 v73, v54, s14, -v72
	v_fmac_f32_e32 v77, 0x3f575c64, v55
	v_fmac_f32_e32 v72, 0x3f575c64, v54
	v_fma_f32 v76, v55, s14, -v76
	v_fma_f32 v79, v54, s15, -v78
	v_fmac_f32_e32 v81, 0x3ed4b147, v55
	v_fmac_f32_e32 v78, 0x3ed4b147, v54
	v_fma_f32 v80, v55, s15, -v80
	;; [unrolled: 4-line block ×5, first 2 shown]
	v_add_f32_e32 v77, v43, v77
	v_add_f32_e32 v76, v43, v76
	;; [unrolled: 1-line block ×11, first 2 shown]
	v_sub_f32_e32 v64, v70, v68
	v_sub_f32_e32 v68, v99, v116
	v_add_f32_e32 v73, v42, v73
	v_add_f32_e32 v72, v42, v72
	;; [unrolled: 1-line block ×10, first 2 shown]
	v_mul_f32_e32 v69, 0xbf68dda4, v68
	v_fma_f32 v70, v54, s15, -v69
	v_add_f32_e32 v55, v99, v116
	v_add_f32_e32 v70, v70, v73
	v_mul_f32_e32 v73, 0xbf68dda4, v64
	v_fmac_f32_e32 v69, 0x3ed4b147, v54
	v_add_f32_e32 v53, v53, v99
	v_mov_b32_e32 v99, v73
	v_add_f32_e32 v69, v69, v72
	v_fma_f32 v72, v55, s15, -v73
	v_mul_f32_e32 v73, 0xbf4178ce, v68
	v_add_f32_e32 v72, v72, v76
	v_fma_f32 v76, v54, s17, -v73
	v_fmac_f32_e32 v99, 0x3ed4b147, v55
	v_add_f32_e32 v76, v76, v79
	v_mul_f32_e32 v79, 0xbf4178ce, v64
	v_fmac_f32_e32 v73, 0xbf27a4f4, v54
	v_add_f32_e32 v77, v99, v77
	v_mov_b32_e32 v99, v79
	v_add_f32_e32 v73, v73, v78
	v_fma_f32 v78, v55, s17, -v79
	v_mul_f32_e32 v79, 0x3e903f40, v68
	v_add_f32_e32 v78, v78, v80
	v_fma_f32 v80, v54, s18, -v79
	v_fmac_f32_e32 v99, 0xbf27a4f4, v55
	;; [unrolled: 11-line block ×3, first 2 shown]
	v_add_f32_e32 v84, v84, v97
	v_mul_f32_e32 v97, 0x3f7d64f0, v64
	v_fmac_f32_e32 v83, 0xbe11bafb, v54
	v_mul_f32_e32 v68, 0x3f0a6770, v68
	v_mul_f32_e32 v64, 0x3f0a6770, v64
	v_add_f32_e32 v85, v99, v85
	v_mov_b32_e32 v99, v97
	v_add_f32_e32 v83, v83, v96
	v_fma_f32 v96, v55, s16, -v97
	v_fma_f32 v97, v54, s14, -v68
	v_fmac_f32_e32 v68, 0x3f575c64, v54
	v_fma_f32 v54, v55, s14, -v64
	v_add_f32_e32 v96, v96, v98
	v_mov_b32_e32 v98, v64
	v_add_f32_e32 v43, v54, v43
	v_add_f32_e32 v54, v71, v65
	v_sub_f32_e32 v64, v71, v65
	v_sub_f32_e32 v65, v101, v114
	v_add_f32_e32 v42, v68, v42
	v_mul_f32_e32 v68, 0xbf7d64f0, v65
	v_fma_f32 v71, v54, s16, -v68
	v_fmac_f32_e32 v99, 0xbe11bafb, v55
	v_fmac_f32_e32 v98, 0x3f575c64, v55
	v_add_f32_e32 v55, v101, v114
	v_add_f32_e32 v70, v71, v70
	v_mul_f32_e32 v71, 0xbf7d64f0, v64
	v_fmac_f32_e32 v68, 0xbe11bafb, v54
	v_add_f32_e32 v99, v99, v100
	v_mov_b32_e32 v100, v71
	v_add_f32_e32 v68, v68, v69
	v_fma_f32 v69, v55, s16, -v71
	v_mul_f32_e32 v71, 0x3e903f40, v65
	v_add_f32_e32 v69, v69, v72
	v_fma_f32 v72, v54, s18, -v71
	v_fmac_f32_e32 v100, 0xbe11bafb, v55
	v_add_f32_e32 v72, v72, v76
	v_mul_f32_e32 v76, 0x3e903f40, v64
	v_fmac_f32_e32 v71, 0xbf75a155, v54
	v_add_f32_e32 v77, v100, v77
	v_mov_b32_e32 v100, v76
	v_add_f32_e32 v71, v71, v73
	v_fma_f32 v73, v55, s18, -v76
	v_mul_f32_e32 v76, 0x3f68dda4, v65
	v_add_f32_e32 v73, v73, v78
	v_fma_f32 v78, v54, s15, -v76
	v_fmac_f32_e32 v100, 0xbf75a155, v55
	v_add_f32_e32 v78, v78, v80
	v_mul_f32_e32 v80, 0x3f68dda4, v64
	v_fmac_f32_e32 v76, 0x3ed4b147, v54
	v_add_f32_e32 v81, v100, v81
	v_mov_b32_e32 v100, v80
	v_add_f32_e32 v76, v76, v79
	v_fma_f32 v79, v55, s15, -v80
	v_mul_f32_e32 v80, 0xbf0a6770, v65
	v_add_f32_e32 v79, v79, v82
	v_fma_f32 v82, v54, s14, -v80
	v_add_f32_e32 v82, v82, v84
	v_mul_f32_e32 v84, 0xbf0a6770, v64
	v_fmac_f32_e32 v80, 0x3f575c64, v54
	v_fmac_f32_e32 v100, 0x3ed4b147, v55
	v_add_f32_e32 v80, v80, v83
	v_fma_f32 v83, v55, s14, -v84
	v_mul_f32_e32 v65, 0xbf4178ce, v65
	v_mul_f32_e32 v64, 0xbf4178ce, v64
	v_add_f32_e32 v85, v100, v85
	v_mov_b32_e32 v100, v84
	v_add_f32_e32 v83, v83, v96
	v_fma_f32 v84, v54, s17, -v65
	v_mov_b32_e32 v96, v64
	v_fmac_f32_e32 v65, 0xbf27a4f4, v54
	v_fma_f32 v54, v55, s17, -v64
	v_sub_f32_e32 v64, v103, v112
	v_add_f32_e32 v42, v65, v42
	v_add_f32_e32 v43, v54, v43
	;; [unrolled: 1-line block ×3, first 2 shown]
	v_mul_f32_e32 v65, 0xbf4178ce, v64
	v_sub_f32_e32 v63, v66, v63
	v_fma_f32 v66, v54, s17, -v65
	v_fmac_f32_e32 v100, 0x3f575c64, v55
	v_fmac_f32_e32 v96, 0xbf27a4f4, v55
	v_add_f32_e32 v55, v103, v112
	v_add_f32_e32 v66, v66, v70
	v_mul_f32_e32 v70, 0xbf4178ce, v63
	v_fmac_f32_e32 v65, 0xbf27a4f4, v54
	v_add_f32_e32 v65, v65, v68
	v_fma_f32 v68, v55, s17, -v70
	v_add_f32_e32 v97, v97, v102
	v_add_f32_e32 v68, v68, v69
	v_mul_f32_e32 v69, 0x3f7d64f0, v64
	v_add_f32_e32 v84, v84, v97
	v_mov_b32_e32 v97, v70
	v_fma_f32 v70, v54, s16, -v69
	v_fmac_f32_e32 v97, 0xbf27a4f4, v55
	v_add_f32_e32 v70, v70, v72
	v_mul_f32_e32 v72, 0x3f7d64f0, v63
	v_fmac_f32_e32 v69, 0xbe11bafb, v54
	v_add_f32_e32 v77, v97, v77
	v_mov_b32_e32 v97, v72
	v_add_f32_e32 v69, v69, v71
	v_fma_f32 v71, v55, s16, -v72
	v_mul_f32_e32 v72, 0xbf0a6770, v64
	v_add_f32_e32 v71, v71, v73
	v_fma_f32 v73, v54, s14, -v72
	v_fmac_f32_e32 v97, 0xbe11bafb, v55
	v_add_f32_e32 v73, v73, v78
	v_mul_f32_e32 v78, 0xbf0a6770, v63
	v_fmac_f32_e32 v72, 0x3f575c64, v54
	v_add_f32_e32 v81, v97, v81
	v_mov_b32_e32 v97, v78
	v_add_f32_e32 v72, v72, v76
	v_fma_f32 v76, v55, s14, -v78
	v_mul_f32_e32 v78, 0xbe903f40, v64
	v_add_f32_e32 v76, v76, v79
	v_fma_f32 v79, v54, s18, -v78
	v_add_f32_e32 v79, v79, v82
	v_mul_f32_e32 v82, 0xbe903f40, v63
	v_fmac_f32_e32 v78, 0xbf75a155, v54
	v_add_f32_e32 v78, v78, v80
	v_fma_f32 v80, v55, s18, -v82
	v_mul_f32_e32 v63, 0x3f68dda4, v63
	v_add_f32_e32 v98, v98, v107
	v_add_f32_e32 v80, v80, v83
	v_mov_b32_e32 v83, v63
	v_add_f32_e32 v96, v96, v98
	v_fmac_f32_e32 v97, 0x3f575c64, v55
	v_mul_f32_e32 v64, 0x3f68dda4, v64
	v_fmac_f32_e32 v83, 0x3ed4b147, v55
	v_add_f32_e32 v85, v97, v85
	v_mov_b32_e32 v97, v82
	v_fma_f32 v82, v54, s15, -v64
	v_add_f32_e32 v83, v83, v96
	v_fmac_f32_e32 v64, 0x3ed4b147, v54
	v_sub_f32_e32 v96, v108, v110
	v_add_f32_e32 v42, v64, v42
	v_fma_f32 v54, v55, s15, -v63
	v_add_f32_e32 v64, v67, v62
	v_sub_f32_e32 v67, v67, v62
	v_mul_f32_e32 v62, 0xbe903f40, v96
	v_add_f32_e32 v53, v53, v101
	v_add_f32_e32 v82, v82, v84
	;; [unrolled: 1-line block ×4, first 2 shown]
	v_fma_f32 v54, v64, s18, -v62
	v_mul_f32_e32 v63, 0xbe903f40, v67
	v_fmac_f32_e32 v62, 0xbf75a155, v64
	v_add_f32_e32 v53, v53, v103
	v_add_f32_e32 v172, v62, v65
	v_fma_f32 v62, v84, s18, -v63
	v_mul_f32_e32 v65, 0x3f0a6770, v96
	v_add_f32_e32 v53, v53, v108
	v_add_f32_e32 v54, v54, v66
	;; [unrolled: 1-line block ×3, first 2 shown]
	v_fma_f32 v62, v64, s14, -v65
	v_mul_f32_e32 v66, 0x3f0a6770, v67
	v_fmac_f32_e32 v65, 0x3f575c64, v64
	v_add_f32_e32 v53, v53, v110
	v_add_f32_e32 v110, v65, v69
	v_fma_f32 v65, v84, s14, -v66
	v_add_f32_e32 v111, v65, v71
	v_mul_f32_e32 v65, 0xbf4178ce, v96
	v_fmac_f32_e32 v97, 0xbf75a155, v55
	v_mov_b32_e32 v55, v63
	v_mov_b32_e32 v63, v66
	v_fma_f32 v66, v64, s17, -v65
	v_add_f32_e32 v101, v66, v73
	v_mul_f32_e32 v66, 0xbf4178ce, v67
	v_fmac_f32_e32 v65, 0xbf27a4f4, v64
	v_add_f32_e32 v53, v53, v112
	v_add_f32_e32 v113, v65, v72
	v_fma_f32 v65, v84, s17, -v66
	v_add_f32_e32 v53, v53, v114
	v_add_f32_e32 v114, v65, v76
	v_mul_f32_e32 v65, 0x3f68dda4, v96
	v_mov_b32_e32 v68, v66
	v_fma_f32 v66, v64, s15, -v65
	v_add_f32_e32 v107, v66, v79
	v_mul_f32_e32 v66, 0x3f68dda4, v67
	v_fmac_f32_e32 v65, 0x3ed4b147, v64
	v_add_f32_e32 v115, v65, v78
	v_fma_f32 v65, v84, s15, -v66
	v_add_f32_e32 v53, v53, v116
	v_fmac_f32_e32 v68, 0xbf27a4f4, v84
	v_add_f32_e32 v116, v65, v80
	v_mul_f32_e32 v65, 0xbf7d64f0, v96
	v_add_f32_e32 v102, v68, v85
	v_mov_b32_e32 v68, v66
	v_fma_f32 v66, v64, s16, -v65
	v_add_f32_e32 v117, v66, v82
	v_mul_f32_e32 v66, 0xbf7d64f0, v67
	v_fmac_f32_e32 v65, 0xbe11bafb, v64
	v_sub_f32_e32 v78, v74, v61
	v_mov_b32_e32 v67, v66
	v_add_f32_e32 v119, v65, v42
	v_fma_f32 v42, v84, s16, -v66
	v_mul_f32_e32 v66, 0xbf0a6770, v78
	v_add_f32_e32 v99, v100, v99
	v_fmac_f32_e32 v67, 0xbe11bafb, v84
	v_add_f32_e32 v120, v42, v43
	v_add_f32_e32 v42, v44, v57
	v_sub_f32_e32 v79, v44, v57
	v_mov_b32_e32 v64, v66
	v_add_f32_e32 v53, v53, v118
	v_add_f32_e32 v97, v97, v99
	v_fmac_f32_e32 v68, 0x3ed4b147, v84
	v_add_f32_e32 v118, v67, v83
	v_add_f32_e32 v43, v74, v61
	v_mul_f32_e32 v67, 0xbf0a6770, v79
	v_fmac_f32_e32 v64, 0x3f575c64, v42
	v_add_f32_e32 v108, v68, v97
	v_add_f32_e32 v68, v40, v64
	v_fma_f32 v64, v43, s14, -v67
	v_mul_f32_e32 v69, 0xbf68dda4, v78
	v_add_f32_e32 v62, v62, v70
	v_add_f32_e32 v70, v41, v64
	v_mov_b32_e32 v64, v69
	v_mul_f32_e32 v72, 0xbf68dda4, v79
	v_fmac_f32_e32 v64, 0x3ed4b147, v42
	v_sub_f32_e32 v80, v75, v60
	v_fmac_f32_e32 v63, 0x3f575c64, v84
	v_add_f32_e32 v82, v40, v64
	v_fma_f32 v64, v43, s15, -v72
	v_mul_f32_e32 v71, 0xbf68dda4, v80
	v_add_f32_e32 v63, v63, v81
	v_add_f32_e32 v83, v41, v64
	;; [unrolled: 1-line block ×3, first 2 shown]
	v_sub_f32_e32 v81, v45, v56
	v_mov_b32_e32 v76, v71
	v_add_f32_e32 v65, v75, v60
	v_mul_f32_e32 v73, 0xbf68dda4, v81
	v_fmac_f32_e32 v76, 0x3ed4b147, v64
	v_add_f32_e32 v85, v76, v68
	v_fma_f32 v68, v65, s15, -v73
	v_mul_f32_e32 v76, 0xbf4178ce, v80
	v_fmac_f32_e32 v55, 0xbf75a155, v84
	v_add_f32_e32 v97, v68, v70
	v_mov_b32_e32 v68, v76
	v_add_f32_e32 v55, v55, v77
	v_mul_f32_e32 v77, 0xbf4178ce, v81
	v_fmac_f32_e32 v68, 0xbf27a4f4, v64
	v_fma_f32 v50, v50, v8, -v121
	v_add_f32_e32 v82, v68, v82
	v_fma_f32 v68, v65, s17, -v77
	v_mul_u32_u24_e32 v84, 0x42, v94
	v_add_f32_e32 v99, v68, v83
	v_sub_f32_e32 v96, v50, v49
	v_sub_f32_e32 v83, v90, v59
	v_add_u32_sdwa v94, v84, v95 dst_sel:DWORD dst_unused:UNUSED_PAD src0_sel:DWORD src1_sel:BYTE_0
	v_add_f32_e32 v70, v90, v59
	v_lshl_add_u32 v184, v94, 3, v181
	v_mul_f32_e32 v95, 0xbf7d64f0, v96
	v_mul_f32_e32 v98, 0x3e903f40, v83
	v_add_f32_e32 v68, v50, v49
	v_mul_f32_e32 v84, 0xbf7d64f0, v83
	ds_write2_b64 v184, v[52:53], v[54:55] offset1:6
	v_fma_f32 v53, v70, s16, -v95
	v_mov_b32_e32 v54, v98
	v_sub_f32_e32 v109, v91, v58
	v_mov_b32_e32 v52, v84
	v_add_f32_e32 v53, v53, v97
	v_fmac_f32_e32 v54, 0xbf75a155, v68
	v_mul_f32_e32 v97, 0xbf4178ce, v109
	v_fmac_f32_e32 v52, 0xbe11bafb, v68
	v_add_f32_e32 v54, v54, v82
	v_add_f32_e32 v82, v51, v48
	ds_write2_b64 v184, v[62:63], v[101:102] offset0:12 offset1:18
	v_sub_f32_e32 v112, v51, v48
	v_mov_b32_e32 v62, v97
	v_add_f32_e32 v52, v52, v85
	v_add_f32_e32 v85, v91, v58
	v_mul_f32_e32 v101, 0xbf4178ce, v112
	v_fmac_f32_e32 v62, 0xbf27a4f4, v82
	v_add_f32_e32 v52, v62, v52
	v_fma_f32 v62, v85, s17, -v101
	v_mul_f32_e32 v103, 0x3f7d64f0, v109
	v_mul_f32_e32 v100, 0x3e903f40, v96
	v_add_f32_e32 v53, v62, v53
	v_mov_b32_e32 v62, v103
	v_fma_f32 v55, v70, s18, -v100
	ds_write2_b64 v184, v[107:108], v[117:118] offset0:24 offset1:30
	v_fmac_f32_e32 v62, 0xbe11bafb, v82
	v_mul_f32_e32 v107, 0x3f7d64f0, v112
	ds_write2_b64 v184, v[119:120], v[115:116] offset0:36 offset1:42
	v_sub_f32_e32 v116, v92, v93
	v_fma_f32 v46, v46, v0, -v123
	v_add_f32_e32 v55, v55, v99
	v_add_f32_e32 v54, v62, v54
	v_fma_f32 v62, v85, s16, -v107
	v_mul_f32_e32 v102, 0xbe903f40, v116
	v_add_f32_e32 v55, v62, v55
	v_add_f32_e32 v94, v46, v47
	v_sub_f32_e32 v119, v46, v47
	v_mov_b32_e32 v62, v102
	v_add_f32_e32 v99, v92, v93
	v_mul_f32_e32 v108, 0xbe903f40, v119
	v_fmac_f32_e32 v62, 0xbf75a155, v94
	ds_write2_b64 v184, v[113:114], v[110:111] offset0:48 offset1:54
	v_add_f32_e32 v177, v62, v52
	v_fma_f32 v52, v99, s18, -v108
	v_mul_f32_e32 v110, 0x3f0a6770, v116
	v_add_f32_e32 v178, v52, v53
	v_mov_b32_e32 v52, v110
	v_mul_f32_e32 v111, 0x3f0a6770, v119
	v_fmac_f32_e32 v52, 0x3f575c64, v94
	v_mul_f32_e32 v113, 0xbf7d64f0, v78
	v_fma_f32 v53, v99, s14, -v111
	v_add_f32_e32 v54, v52, v54
	v_mov_b32_e32 v52, v113
	v_mul_f32_e32 v114, 0x3e903f40, v80
	v_add_f32_e32 v55, v53, v55
	v_fmac_f32_e32 v52, 0xbe11bafb, v42
	v_mov_b32_e32 v53, v114
	v_add_f32_e32 v52, v40, v52
	v_fmac_f32_e32 v53, 0xbf75a155, v64
	v_mul_f32_e32 v115, 0x3f68dda4, v83
	v_add_f32_e32 v52, v53, v52
	v_mov_b32_e32 v53, v115
	v_fmac_f32_e32 v53, 0x3ed4b147, v68
	v_mul_f32_e32 v117, 0xbf0a6770, v109
	v_add_f32_e32 v52, v53, v52
	v_mov_b32_e32 v53, v117
	;; [unrolled: 4-line block ×3, first 2 shown]
	v_fmac_f32_e32 v53, 0xbf27a4f4, v94
	v_mul_f32_e32 v120, 0xbf7d64f0, v79
	v_add_f32_e32 v52, v53, v52
	v_fma_f32 v53, v43, s16, -v120
	v_mul_f32_e32 v121, 0x3e903f40, v81
	v_add_f32_e32 v53, v41, v53
	v_fma_f32 v62, v65, s18, -v121
	;; [unrolled: 3-line block ×5, first 2 shown]
	v_mul_f32_e32 v162, 0xbf4178ce, v78
	v_add_f32_e32 v53, v62, v53
	v_mov_b32_e32 v62, v162
	v_mul_f32_e32 v163, 0x3f7d64f0, v80
	v_fmac_f32_e32 v62, 0xbf27a4f4, v42
	v_mov_b32_e32 v63, v163
	v_add_f32_e32 v62, v40, v62
	v_fmac_f32_e32 v63, 0xbe11bafb, v64
	v_mul_f32_e32 v166, 0xbf4178ce, v79
	v_add_f32_e32 v62, v63, v62
	v_fma_f32 v63, v43, s17, -v166
	v_mul_f32_e32 v167, 0x3f7d64f0, v81
	v_add_f32_e32 v63, v41, v63
	v_fma_f32 v164, v65, s16, -v167
	v_add_f32_e32 v63, v164, v63
	v_mul_f32_e32 v164, 0xbf0a6770, v83
	v_mov_b32_e32 v165, v164
	v_fmac_f32_e32 v165, 0x3f575c64, v68
	v_mul_f32_e32 v169, 0xbf0a6770, v96
	v_add_f32_e32 v62, v165, v62
	v_fma_f32 v165, v70, s14, -v169
	v_add_f32_e32 v63, v165, v63
	v_mul_f32_e32 v165, 0xbe903f40, v109
	v_mov_b32_e32 v168, v165
	v_fmac_f32_e32 v168, 0xbf75a155, v82
	v_mul_f32_e32 v170, 0xbe903f40, v112
	v_add_f32_e32 v62, v168, v62
	v_fma_f32 v168, v85, s18, -v170
	v_add_f32_e32 v63, v168, v63
	v_mul_f32_e32 v168, 0x3f68dda4, v116
	v_mov_b32_e32 v174, v168
	v_mul_f32_e32 v171, 0x3f68dda4, v119
	v_fmac_f32_e32 v174, 0x3ed4b147, v94
	v_fma_f32 v175, v99, s15, -v171
	v_add_f32_e32 v62, v174, v62
	v_add_f32_e32 v63, v175, v63
	ds_write_b64 v184, v[172:173] offset:480
	s_and_saveexec_b64 s[12:13], s[0:1]
	s_cbranch_execz .LBB0_5
; %bb.4:
	v_mul_f32_e32 v175, 0x3ed4b147, v43
	v_mul_f32_e32 v191, 0xbf27a4f4, v65
	v_add_f32_e32 v72, v72, v175
	v_mul_f32_e32 v199, 0xbf75a155, v70
	v_add_f32_e32 v72, v41, v72
	v_add_f32_e32 v77, v77, v191
	v_mul_f32_e32 v207, 0xbe11bafb, v85
	v_add_f32_e32 v72, v77, v72
	v_add_f32_e32 v77, v100, v199
	v_mul_f32_e32 v174, 0x3ed4b147, v42
	v_mul_f32_e32 v215, 0x3f575c64, v99
	;; [unrolled: 1-line block ×3, first 2 shown]
	v_add_f32_e32 v72, v77, v72
	v_add_f32_e32 v77, v107, v207
	v_mul_f32_e32 v190, 0xbf27a4f4, v64
	v_mov_b32_e32 v79, v220
	v_mul_f32_e32 v221, 0x3f0a6770, v81
	v_add_f32_e32 v72, v77, v72
	v_add_f32_e32 v77, v111, v215
	v_sub_f32_e32 v69, v174, v69
	v_mul_f32_e32 v198, 0xbf75a155, v68
	v_fmac_f32_e32 v79, 0xbf75a155, v43
	v_mov_b32_e32 v81, v221
	v_add_f32_e32 v77, v77, v72
	v_add_f32_e32 v69, v40, v69
	v_sub_f32_e32 v72, v190, v76
	v_mul_f32_e32 v206, 0xbe11bafb, v82
	v_add_f32_e32 v79, v41, v79
	v_fmac_f32_e32 v81, 0x3f575c64, v65
	v_mul_f32_e32 v96, 0xbf4178ce, v96
	v_mul_f32_e32 v222, 0xbe903f40, v78
	v_add_f32_e32 v69, v72, v69
	v_sub_f32_e32 v72, v198, v98
	v_mul_f32_e32 v173, 0x3f575c64, v43
	v_mul_f32_e32 v214, 0x3f575c64, v94
	v_add_f32_e32 v79, v81, v79
	v_mov_b32_e32 v81, v96
	v_fma_f32 v78, v42, s18, -v222
	v_mul_f32_e32 v223, 0x3f0a6770, v80
	v_add_f32_e32 v69, v72, v69
	v_sub_f32_e32 v72, v206, v103
	v_mul_f32_e32 v189, 0x3ed4b147, v65
	v_fmac_f32_e32 v81, 0xbf27a4f4, v70
	v_mul_f32_e32 v112, 0x3f68dda4, v112
	v_add_f32_e32 v78, v40, v78
	v_fma_f32 v80, v64, s14, -v223
	v_mul_f32_e32 v83, 0xbf4178ce, v83
	v_add_f32_e32 v69, v72, v69
	v_sub_f32_e32 v72, v214, v110
	v_add_f32_e32 v67, v67, v173
	v_mul_f32_e32 v197, 0xbe11bafb, v70
	v_add_f32_e32 v79, v81, v79
	v_mov_b32_e32 v81, v112
	v_add_f32_e32 v78, v80, v78
	v_fma_f32 v80, v68, s17, -v83
	v_mul_f32_e32 v109, 0x3f68dda4, v109
	v_add_f32_e32 v76, v72, v69
	v_add_f32_e32 v67, v41, v67
	;; [unrolled: 1-line block ×3, first 2 shown]
	v_mul_f32_e32 v205, 0xbf27a4f4, v85
	v_fmac_f32_e32 v81, 0x3ed4b147, v85
	v_mul_f32_e32 v119, 0xbf7d64f0, v119
	v_add_f32_e32 v78, v80, v78
	v_fma_f32 v80, v82, s15, -v109
	v_mul_f32_e32 v224, 0xbf7d64f0, v116
	v_add_f32_e32 v67, v69, v67
	v_add_f32_e32 v69, v95, v197
	v_mul_f32_e32 v172, 0x3f575c64, v42
	v_mul_f32_e32 v187, 0xbf27a4f4, v43
	;; [unrolled: 1-line block ×3, first 2 shown]
	v_add_f32_e32 v79, v81, v79
	v_mov_b32_e32 v81, v119
	v_add_f32_e32 v78, v80, v78
	v_fma_f32 v80, v94, s16, -v224
	v_add_f32_e32 v67, v69, v67
	v_add_f32_e32 v69, v101, v205
	v_mul_f32_e32 v188, 0x3ed4b147, v64
	v_mul_f32_e32 v195, 0xbe11bafb, v65
	v_fmac_f32_e32 v81, 0xbe11bafb, v99
	v_add_f32_e32 v78, v80, v78
	v_add_f32_e32 v80, v166, v187
	;; [unrolled: 1-line block ×4, first 2 shown]
	v_sub_f32_e32 v66, v172, v66
	v_mul_f32_e32 v196, 0xbe11bafb, v68
	v_mul_f32_e32 v203, 0x3f575c64, v70
	v_add_f32_e32 v79, v81, v79
	v_add_f32_e32 v80, v41, v80
	;; [unrolled: 1-line block ×5, first 2 shown]
	v_sub_f32_e32 v69, v188, v71
	v_mul_f32_e32 v204, 0xbf27a4f4, v82
	v_mul_f32_e32 v211, 0xbf75a155, v85
	v_add_f32_e32 v80, v81, v80
	v_add_f32_e32 v81, v169, v203
	;; [unrolled: 1-line block ×3, first 2 shown]
	v_sub_f32_e32 v69, v196, v84
	v_mul_f32_e32 v212, 0xbf75a155, v94
	v_mul_f32_e32 v219, 0x3ed4b147, v99
	v_add_f32_e32 v80, v81, v80
	v_add_f32_e32 v81, v170, v211
	;; [unrolled: 1-line block ×3, first 2 shown]
	v_sub_f32_e32 v69, v204, v97
	v_mul_f32_e32 v186, 0xbf27a4f4, v42
	v_add_f32_e32 v80, v81, v80
	v_add_f32_e32 v81, v171, v219
	;; [unrolled: 1-line block ×3, first 2 shown]
	v_sub_f32_e32 v69, v212, v102
	v_mul_f32_e32 v194, 0xbe11bafb, v64
	v_add_f32_e32 v81, v81, v80
	v_sub_f32_e32 v80, v186, v162
	v_add_f32_e32 v66, v69, v66
	v_add_f32_e32 v69, v41, v74
	;; [unrolled: 1-line block ×3, first 2 shown]
	v_mul_f32_e32 v202, 0x3f575c64, v68
	v_add_f32_e32 v80, v40, v80
	v_sub_f32_e32 v116, v194, v163
	v_add_f32_e32 v69, v69, v75
	v_add_f32_e32 v44, v44, v45
	v_mul_f32_e32 v210, 0xbf75a155, v82
	v_add_f32_e32 v80, v116, v80
	v_sub_f32_e32 v116, v202, v164
	v_add_f32_e32 v69, v69, v90
	v_add_f32_e32 v44, v44, v50
	;; [unrolled: 5-line block ×3, first 2 shown]
	v_mul_f32_e32 v176, 0xbe11bafb, v42
	v_mul_f32_e32 v185, 0xbe11bafb, v43
	v_add_f32_e32 v80, v116, v80
	v_sub_f32_e32 v116, v218, v168
	v_add_f32_e32 v69, v69, v92
	v_add_f32_e32 v44, v44, v46
	v_mul_f32_e32 v192, 0xbf75a155, v64
	v_mul_f32_e32 v193, 0xbf75a155, v65
	v_add_f32_e32 v80, v116, v80
	v_add_f32_e32 v116, v120, v185
	v_sub_f32_e32 v113, v176, v113
	v_add_f32_e32 v69, v69, v93
	v_add_f32_e32 v44, v44, v47
	v_fma_f32 v43, v43, s18, -v220
	v_fmac_f32_e32 v222, 0xbf75a155, v42
	v_mul_f32_e32 v200, 0x3ed4b147, v68
	v_mul_f32_e32 v201, 0x3ed4b147, v70
	v_add_f32_e32 v116, v41, v116
	v_add_f32_e32 v120, v121, v193
	;; [unrolled: 1-line block ×3, first 2 shown]
	v_sub_f32_e32 v114, v192, v114
	v_add_f32_e32 v58, v69, v58
	v_add_f32_e32 v44, v44, v48
	;; [unrolled: 1-line block ×3, first 2 shown]
	v_fma_f32 v43, v65, s14, -v221
	v_add_f32_e32 v40, v40, v222
	v_fmac_f32_e32 v223, 0x3f575c64, v64
	v_mul_f32_e32 v208, 0x3f575c64, v82
	v_mul_f32_e32 v209, 0x3f575c64, v85
	v_add_f32_e32 v116, v120, v116
	v_add_f32_e32 v120, v122, v201
	v_add_f32_e32 v113, v114, v113
	v_sub_f32_e32 v114, v200, v115
	v_add_f32_e32 v58, v58, v59
	v_add_f32_e32 v44, v44, v49
	;; [unrolled: 1-line block ×3, first 2 shown]
	v_fma_f32 v43, v70, s17, -v96
	v_add_f32_e32 v40, v223, v40
	v_fmac_f32_e32 v83, 0xbf27a4f4, v68
	v_mul_u32_u24_e32 v42, 0x42, v182
	v_mul_f32_e32 v216, 0xbf27a4f4, v94
	v_mul_f32_e32 v217, 0xbf27a4f4, v99
	v_add_f32_e32 v116, v120, v116
	v_add_f32_e32 v120, v123, v209
	;; [unrolled: 1-line block ×3, first 2 shown]
	v_sub_f32_e32 v114, v208, v117
	v_add_f32_e32 v58, v58, v60
	v_add_f32_e32 v44, v44, v56
	v_add_f32_e32 v41, v43, v41
	v_fma_f32 v43, v85, s15, -v112
	v_add_f32_e32 v40, v83, v40
	v_fmac_f32_e32 v109, 0x3ed4b147, v82
	v_add_u32_sdwa v42, v42, v183 dst_sel:DWORD dst_unused:UNUSED_PAD src0_sel:DWORD src1_sel:BYTE_0
	v_add_f32_e32 v116, v120, v116
	v_add_f32_e32 v120, v161, v217
	;; [unrolled: 1-line block ×3, first 2 shown]
	v_sub_f32_e32 v114, v216, v118
	v_add_f32_e32 v58, v58, v61
	v_add_f32_e32 v57, v44, v57
	;; [unrolled: 1-line block ×3, first 2 shown]
	v_fma_f32 v43, v99, s16, -v119
	v_add_f32_e32 v40, v109, v40
	v_fmac_f32_e32 v224, 0xbe11bafb, v94
	v_lshl_add_u32 v42, v42, 3, v181
	v_add_f32_e32 v116, v120, v116
	v_add_f32_e32 v115, v114, v113
	;; [unrolled: 1-line block ×4, first 2 shown]
	ds_write2_b64 v42, v[57:58], v[66:67] offset1:6
	ds_write2_b64 v42, v[76:77], v[115:116] offset0:12 offset1:18
	ds_write2_b64 v42, v[80:81], v[78:79] offset0:24 offset1:30
	;; [unrolled: 1-line block ×4, first 2 shown]
	ds_write_b64 v42, v[177:178] offset:480
.LBB0_5:
	s_or_b64 exec, exec, s[12:13]
	s_movk_i32 s12, 0x108
	v_add_co_u32_e32 v80, vcc, s12, v179
	s_movk_i32 s12, 0x14a
	v_add_co_u32_e32 v84, vcc, s12, v179
	s_movk_i32 s12, 0xf9
	v_mul_lo_u16_sdwa v43, v86, s12 dst_sel:DWORD dst_unused:UNUSED_PAD src0_sel:BYTE_0 src1_sel:DWORD
	v_lshrrev_b16_e32 v43, 14, v43
	v_mul_lo_u16_e32 v43, 0x42, v43
	v_add_co_u32_e32 v76, vcc, 0xc6, v179
	v_sub_u16_e32 v43, v86, v43
	v_mov_b32_e32 v44, 3
	s_mov_b32 s12, 0xf83f
	v_lshlrev_b32_sdwa v79, v44, v43 dst_sel:DWORD dst_unused:UNUSED_PAD src0_sel:DWORD src1_sel:BYTE_0
	v_mul_u32_u24_sdwa v43, v76, s12 dst_sel:DWORD dst_unused:UNUSED_PAD src0_sel:WORD_0 src1_sel:DWORD
	v_lshrrev_b32_e32 v43, 22, v43
	v_mul_lo_u16_e32 v43, 0x42, v43
	v_sub_u16_e32 v43, v76, v43
	v_mul_u32_u24_sdwa v85, v80, s12 dst_sel:DWORD dst_unused:UNUSED_PAD src0_sel:WORD_0 src1_sel:DWORD
	v_lshlrev_b32_e32 v83, 3, v43
	v_lshrrev_b32_e32 v43, 22, v85
	v_mul_lo_u16_e32 v43, 0x42, v43
	v_sub_u16_e32 v43, v80, v43
	v_mul_u32_u24_sdwa v101, v84, s12 dst_sel:DWORD dst_unused:UNUSED_PAD src0_sel:WORD_0 src1_sel:DWORD
	v_lshlrev_b32_e32 v100, 3, v43
	v_lshrrev_b32_e32 v43, 22, v101
	v_mul_lo_u16_e32 v43, 0x42, v43
	v_add_u32_e32 v40, 0x18c, v179
	v_sub_u16_e32 v43, v84, v43
	v_lshlrev_b32_e32 v102, 3, v43
	v_mul_u32_u24_sdwa v43, v40, s12 dst_sel:DWORD dst_unused:UNUSED_PAD src0_sel:WORD_0 src1_sel:DWORD
	v_lshrrev_b32_e32 v43, 22, v43
	v_mul_lo_u16_e32 v43, 0x42, v43
	v_add_u32_e32 v41, 0x1ce, v179
	v_sub_u16_e32 v40, v40, v43
	v_lshlrev_b32_e32 v103, 3, v40
	v_mul_u32_u24_sdwa v40, v41, s12 dst_sel:DWORD dst_unused:UNUSED_PAD src0_sel:WORD_0 src1_sel:DWORD
	v_lshrrev_b32_e32 v40, 22, v40
	v_lshlrev_b32_e32 v91, 3, v179
	v_mul_lo_u16_e32 v40, 0x42, v40
	v_add_u32_e32 v42, 0x210, v179
	s_waitcnt lgkmcnt(0)
	s_barrier
	global_load_dwordx2 v[163:164], v91, s[10:11] offset:480
	v_sub_u16_e32 v40, v41, v40
	v_lshlrev_b32_e32 v107, 3, v40
	v_mul_u32_u24_sdwa v40, v42, s12 dst_sel:DWORD dst_unused:UNUSED_PAD src0_sel:WORD_0 src1_sel:DWORD
	global_load_dwordx2 v[167:168], v79, s[10:11] offset:480
	global_load_dwordx2 v[165:166], v83, s[10:11] offset:480
	;; [unrolled: 1-line block ×3, first 2 shown]
	v_lshrrev_b32_e32 v40, 22, v40
	global_load_dwordx2 v[171:172], v102, s[10:11] offset:480
	global_load_dwordx2 v[169:170], v103, s[10:11] offset:480
	;; [unrolled: 1-line block ×3, first 2 shown]
	v_mul_lo_u16_e32 v40, 0x42, v40
	v_sub_u16_e32 v40, v42, v40
	v_lshlrev_b32_e32 v109, 3, v40
	global_load_dwordx2 v[173:174], v109, s[10:11] offset:480
	v_add_u32_e32 v108, 0x1000, v180
	ds_read2_b64 v[40:43], v180 offset1:66
	ds_read2_b64 v[44:47], v180 offset0:132 offset1:198
	v_add_u32_e32 v61, 0x1800, v180
	v_add_u32_e32 v60, 0x800, v180
	;; [unrolled: 1-line block ×3, first 2 shown]
	ds_read2_b64 v[48:51], v108 offset0:16 offset1:82
	ds_read2_b64 v[56:59], v108 offset0:148 offset1:214
	;; [unrolled: 1-line block ×7, first 2 shown]
	v_add_u32_e32 v185, v181, v79
	s_waitcnt vmcnt(0) lgkmcnt(0)
	s_barrier
	v_add_u32_e32 v186, v181, v83
	v_add_u32_e32 v187, v181, v100
	;; [unrolled: 1-line block ×6, first 2 shown]
	v_lshlrev_b32_e32 v79, 4, v179
	v_lshlrev_b32_e32 v83, 4, v87
	;; [unrolled: 1-line block ×3, first 2 shown]
	v_lshl_add_u32 v196, v89, 3, v88
	v_mov_b32_e32 v88, s9
	v_mul_f32_e32 v78, v50, v164
	v_mul_f32_e32 v77, v51, v164
	v_fmac_f32_e32 v78, v51, v163
	v_mul_f32_e32 v51, v59, v168
	v_fma_f32 v50, v50, v163, -v77
	v_mul_f32_e32 v77, v58, v168
	v_fma_f32 v58, v58, v167, -v51
	v_mul_f32_e32 v51, v67, v162
	v_fma_f32 v111, v66, v161, -v51
	v_mul_f32_e32 v51, v73, v172
	v_fma_f32 v113, v72, v171, -v51
	v_mul_f32_e32 v51, v75, v170
	v_fma_f32 v115, v74, v169, -v51
	v_mul_f32_e32 v51, v97, v176
	v_mul_f32_e32 v81, v57, v164
	;; [unrolled: 1-line block ×3, first 2 shown]
	v_fma_f32 v117, v96, v175, -v51
	v_mul_f32_e32 v96, v96, v176
	v_mul_f32_e32 v51, v99, v174
	v_fma_f32 v56, v56, v163, -v81
	v_fmac_f32_e32 v82, v57, v163
	v_mul_f32_e32 v57, v65, v166
	v_fmac_f32_e32 v77, v59, v167
	v_mul_f32_e32 v110, v64, v166
	v_fmac_f32_e32 v96, v97, v175
	v_fma_f32 v97, v98, v173, -v51
	v_sub_f32_e32 v50, v40, v50
	v_sub_f32_e32 v51, v41, v78
	v_fma_f32 v81, v64, v165, -v57
	v_fmac_f32_e32 v110, v65, v165
	v_mul_f32_e32 v112, v66, v162
	v_fma_f32 v40, v40, 2.0, -v50
	v_fma_f32 v41, v41, 2.0, -v51
	v_sub_f32_e32 v56, v42, v56
	v_sub_f32_e32 v57, v43, v82
	;; [unrolled: 1-line block ×4, first 2 shown]
	v_fmac_f32_e32 v112, v67, v161
	v_mul_f32_e32 v114, v72, v172
	v_fma_f32 v42, v42, 2.0, -v56
	v_fma_f32 v43, v43, 2.0, -v57
	;; [unrolled: 1-line block ×4, first 2 shown]
	v_sub_f32_e32 v64, v46, v81
	v_sub_f32_e32 v65, v47, v110
	ds_write2_b64 v180, v[40:41], v[50:51] offset1:66
	ds_write2_b64 v180, v[42:43], v[56:57] offset0:132 offset1:198
	v_add_u32_e32 v40, 0x800, v185
	v_fmac_f32_e32 v114, v73, v171
	v_mul_f32_e32 v116, v74, v170
	v_fma_f32 v46, v46, 2.0, -v64
	v_fma_f32 v47, v47, 2.0, -v65
	v_sub_f32_e32 v66, v68, v111
	v_sub_f32_e32 v67, v69, v112
	ds_write2_b64 v40, v[44:45], v[58:59] offset0:8 offset1:74
	v_add_u32_e32 v40, 0x800, v186
	v_fmac_f32_e32 v116, v75, v169
	v_fma_f32 v68, v68, 2.0, -v66
	v_fma_f32 v69, v69, 2.0, -v67
	v_sub_f32_e32 v72, v70, v113
	v_sub_f32_e32 v73, v71, v114
	ds_write2_b64 v40, v[46:47], v[64:65] offset0:140 offset1:206
	v_add_u32_e32 v40, 0x1000, v187
	v_mul_f32_e32 v98, v98, v174
	v_fma_f32 v70, v70, 2.0, -v72
	v_fma_f32 v71, v71, 2.0, -v73
	v_sub_f32_e32 v74, v92, v115
	v_sub_f32_e32 v75, v93, v116
	ds_write2_b64 v40, v[68:69], v[66:67] offset0:16 offset1:82
	v_add_u32_e32 v40, 0x1000, v188
	v_fmac_f32_e32 v98, v99, v173
	v_fma_f32 v77, v92, 2.0, -v74
	v_fma_f32 v78, v93, 2.0, -v75
	v_sub_f32_e32 v81, v94, v117
	v_sub_f32_e32 v82, v95, v96
	ds_write2_b64 v40, v[70:71], v[72:73] offset0:148 offset1:214
	v_add_u32_e32 v40, 0x1800, v189
	v_fma_f32 v92, v94, 2.0, -v81
	v_fma_f32 v93, v95, 2.0, -v82
	v_sub_f32_e32 v94, v48, v97
	v_sub_f32_e32 v95, v49, v98
	ds_write2_b64 v40, v[77:78], v[74:75] offset0:24 offset1:90
	v_add_u32_e32 v40, 0x1800, v190
	v_fma_f32 v48, v48, 2.0, -v94
	v_fma_f32 v49, v49, 2.0, -v95
	ds_write2_b64 v40, v[92:93], v[81:82] offset0:156 offset1:222
	v_add_u32_e32 v40, 0x2000, v191
	ds_write2_b64 v40, v[48:49], v[94:95] offset0:32 offset1:98
	s_waitcnt lgkmcnt(0)
	s_barrier
	global_load_dwordx4 v[40:43], v79, s[10:11] offset:1008
	global_load_dwordx4 v[44:47], v83, s[10:11] offset:1008
	v_lshrrev_b32_e32 v48, 23, v85
	v_mul_lo_u16_e32 v48, 0x84, v48
	v_sub_u16_e32 v85, v80, v48
	v_lshrrev_b32_e32 v56, 23, v101
	v_lshlrev_b16_e32 v48, 4, v85
	v_mul_lo_u16_e32 v56, 0x84, v56
	v_mov_b32_e32 v57, s11
	v_add_co_u32_e32 v48, vcc, s10, v48
	v_sub_u16_e32 v87, v84, v56
	v_addc_co_u32_e32 v49, vcc, 0, v57, vcc
	v_lshlrev_b16_e32 v56, 4, v87
	global_load_dwordx4 v[48:51], v[48:49], off offset:1008
	v_add_co_u32_e32 v56, vcc, s10, v56
	v_addc_co_u32_e32 v57, vcc, 0, v57, vcc
	global_load_dwordx4 v[56:59], v[56:57], off offset:1008
	ds_read2_b64 v[64:67], v180 offset1:66
	ds_read2_b64 v[68:71], v60 offset0:140 offset1:206
	ds_read2_b64 v[72:75], v61 offset0:24 offset1:90
	ds_read2_b64 v[92:95], v180 offset0:132 offset1:198
	ds_read2_b64 v[96:99], v108 offset0:16 offset1:82
	ds_read2_b64 v[100:103], v61 offset0:156 offset1:222
	ds_read2_b64 v[109:112], v60 offset0:8 offset1:74
	ds_read2_b64 v[113:116], v108 offset0:148 offset1:214
	ds_read2_b64 v[117:120], v90 offset0:32 offset1:98
	s_waitcnt vmcnt(0) lgkmcnt(0)
	s_barrier
	v_lshlrev_b32_e32 v80, 4, v80
	v_lshlrev_b32_e32 v84, 4, v84
	v_mul_f32_e32 v77, v69, v41
	v_fma_f32 v77, v68, v40, -v77
	v_mul_f32_e32 v78, v68, v41
	v_mul_f32_e32 v68, v73, v43
	v_fma_f32 v81, v72, v42, -v68
	v_mul_f32_e32 v68, v71, v45
	v_fma_f32 v82, v70, v44, -v68
	;; [unrolled: 2-line block ×4, first 2 shown]
	v_mul_f32_e32 v96, v96, v41
	v_mul_f32_e32 v68, v101, v43
	v_fmac_f32_e32 v96, v97, v40
	v_fma_f32 v97, v100, v42, -v68
	v_mul_f32_e32 v100, v100, v43
	v_mul_f32_e32 v68, v99, v45
	v_fmac_f32_e32 v100, v101, v42
	v_fma_f32 v101, v98, v44, -v68
	;; [unrolled: 4-line block ×5, first 2 shown]
	v_mul_f32_e32 v114, v117, v51
	v_mul_f32_e32 v68, v116, v57
	v_fmac_f32_e32 v78, v69, v40
	v_mul_f32_e32 v72, v72, v43
	v_fmac_f32_e32 v114, v118, v50
	v_fma_f32 v117, v115, v56, -v68
	v_mul_f32_e32 v118, v115, v57
	v_mul_f32_e32 v68, v120, v59
	v_add_f32_e32 v69, v77, v81
	v_fmac_f32_e32 v72, v73, v42
	v_mul_f32_e32 v107, v70, v45
	v_fmac_f32_e32 v118, v116, v56
	v_fma_f32 v116, v119, v58, -v68
	v_add_f32_e32 v68, v64, v77
	v_fma_f32 v64, -0.5, v69, v64
	v_fmac_f32_e32 v107, v71, v44
	v_sub_f32_e32 v69, v78, v72
	v_mov_b32_e32 v70, v64
	v_add_f32_e32 v71, v78, v72
	v_fmac_f32_e32 v70, 0x3f5db3d7, v69
	v_fmac_f32_e32 v64, 0xbf5db3d7, v69
	v_add_f32_e32 v69, v65, v78
	v_fma_f32 v65, -0.5, v71, v65
	v_mul_f32_e32 v122, v74, v47
	v_add_f32_e32 v69, v69, v72
	v_sub_f32_e32 v72, v77, v81
	v_mov_b32_e32 v71, v65
	v_add_f32_e32 v73, v82, v121
	v_fmac_f32_e32 v122, v75, v46
	v_fmac_f32_e32 v71, 0xbf5db3d7, v72
	;; [unrolled: 1-line block ×3, first 2 shown]
	v_add_f32_e32 v72, v66, v82
	v_fma_f32 v66, -0.5, v73, v66
	v_sub_f32_e32 v73, v107, v122
	v_mov_b32_e32 v74, v66
	v_add_f32_e32 v75, v107, v122
	v_fmac_f32_e32 v74, 0x3f5db3d7, v73
	v_fmac_f32_e32 v66, 0xbf5db3d7, v73
	v_add_f32_e32 v73, v67, v107
	v_fmac_f32_e32 v67, -0.5, v75
	v_add_f32_e32 v78, v123, v97
	v_add_f32_e32 v68, v68, v81
	v_sub_f32_e32 v77, v82, v121
	v_mov_b32_e32 v75, v67
	v_fma_f32 v81, -0.5, v78, v92
	v_add_f32_e32 v82, v96, v100
	v_fmac_f32_e32 v75, 0xbf5db3d7, v77
	v_fmac_f32_e32 v67, 0x3f5db3d7, v77
	v_add_f32_e32 v77, v92, v123
	v_sub_f32_e32 v78, v96, v100
	v_mov_b32_e32 v92, v81
	v_fma_f32 v82, -0.5, v82, v93
	v_add_f32_e32 v77, v77, v97
	v_fmac_f32_e32 v92, 0x3f5db3d7, v78
	v_fmac_f32_e32 v81, 0xbf5db3d7, v78
	v_add_f32_e32 v78, v93, v96
	v_sub_f32_e32 v96, v123, v97
	v_mov_b32_e32 v93, v82
	v_add_f32_e32 v97, v101, v99
	v_fmac_f32_e32 v93, 0xbf5db3d7, v96
	v_fmac_f32_e32 v82, 0x3f5db3d7, v96
	v_add_f32_e32 v96, v94, v101
	v_fma_f32 v94, -0.5, v97, v94
	v_add_f32_e32 v78, v78, v100
	v_sub_f32_e32 v97, v192, v102
	v_mov_b32_e32 v98, v94
	v_add_f32_e32 v100, v192, v102
	v_fmac_f32_e32 v98, 0x3f5db3d7, v97
	v_fmac_f32_e32 v94, 0xbf5db3d7, v97
	v_add_f32_e32 v97, v95, v192
	v_fmac_f32_e32 v95, -0.5, v100
	v_sub_f32_e32 v100, v101, v99
	v_add_f32_e32 v101, v193, v113
	v_add_f32_e32 v96, v96, v99
	;; [unrolled: 1-line block ×3, first 2 shown]
	v_mov_b32_e32 v99, v95
	v_fma_f32 v102, -0.5, v101, v109
	v_fmac_f32_e32 v99, 0xbf5db3d7, v100
	v_fmac_f32_e32 v95, 0x3f5db3d7, v100
	v_add_f32_e32 v100, v109, v193
	v_sub_f32_e32 v101, v103, v114
	v_mov_b32_e32 v109, v102
	v_fmac_f32_e32 v109, 0x3f5db3d7, v101
	v_fmac_f32_e32 v102, 0xbf5db3d7, v101
	v_add_f32_e32 v101, v110, v103
	v_add_f32_e32 v103, v103, v114
	v_fma_f32 v103, -0.5, v103, v110
	v_sub_f32_e32 v107, v193, v113
	v_mov_b32_e32 v110, v103
	v_fmac_f32_e32 v110, 0xbf5db3d7, v107
	v_fmac_f32_e32 v103, 0x3f5db3d7, v107
	v_add_f32_e32 v107, v111, v117
	v_mul_f32_e32 v119, v119, v59
	v_add_f32_e32 v100, v100, v113
	v_add_f32_e32 v113, v107, v116
	;; [unrolled: 1-line block ×3, first 2 shown]
	v_fmac_f32_e32 v119, v120, v58
	v_fma_f32 v111, -0.5, v107, v111
	v_sub_f32_e32 v107, v118, v119
	v_mov_b32_e32 v115, v111
	v_fmac_f32_e32 v115, 0x3f5db3d7, v107
	v_fmac_f32_e32 v111, 0xbf5db3d7, v107
	v_add_f32_e32 v107, v112, v118
	v_add_f32_e32 v101, v101, v114
	;; [unrolled: 1-line block ×6, first 2 shown]
	v_fmac_f32_e32 v112, -0.5, v107
	v_lshl_add_u32 v192, v85, 3, v181
	v_sub_f32_e32 v107, v117, v116
	v_mov_b32_e32 v116, v112
	ds_write2_b64 v180, v[68:69], v[72:73] offset1:66
	ds_write2_b64 v180, v[70:71], v[74:75] offset0:132 offset1:198
	ds_write2_b64 v60, v[64:65], v[66:67] offset0:8 offset1:74
	;; [unrolled: 1-line block ×5, first 2 shown]
	v_add_u32_e32 v64, 0x1800, v192
	v_lshl_add_u32 v193, v87, 3, v181
	v_fmac_f32_e32 v116, 0xbf5db3d7, v107
	ds_write2_b64 v64, v[100:101], v[109:110] offset0:24 offset1:156
	ds_write_b64 v192, v[102:103] offset:8448
	v_add_u32_e32 v64, 0x1800, v193
	v_fmac_f32_e32 v112, 0x3f5db3d7, v107
	ds_write2_b64 v64, v[113:114], v[115:116] offset0:24 offset1:156
	ds_write_b64 v193, v[111:112] offset:8448
	s_waitcnt lgkmcnt(0)
	s_barrier
	global_load_dwordx4 v[64:67], v79, s[10:11] offset:3120
	global_load_dwordx4 v[68:71], v83, s[10:11] offset:3120
	v_lshlrev_b32_e32 v72, 4, v86
	global_load_dwordx4 v[72:75], v72, s[10:11] offset:3120
	v_add_co_u32_e32 v103, vcc, s8, v91
	global_load_dwordx4 v[76:79], v76, s[10:11] offset:3120
	v_addc_co_u32_e32 v107, vcc, 0, v88, vcc
	global_load_dwordx4 v[80:83], v80, s[10:11] offset:3120
	s_movk_i32 s8, 0x2000
	global_load_dwordx4 v[84:87], v84, s[10:11] offset:3120
	ds_read2_b64 v[91:94], v180 offset1:66
	ds_read2_b64 v[95:98], v60 offset0:140 offset1:206
	ds_read2_b64 v[99:102], v61 offset0:24 offset1:90
	ds_read2_b64 v[109:112], v180 offset0:132 offset1:198
	ds_read2_b64 v[113:116], v108 offset0:16 offset1:82
	ds_read2_b64 v[117:120], v61 offset0:156 offset1:222
	ds_read2_b64 v[197:200], v60 offset0:8 offset1:74
	ds_read2_b64 v[201:204], v108 offset0:148 offset1:214
	ds_read2_b64 v[205:208], v90 offset0:32 offset1:98
	s_waitcnt vmcnt(5) lgkmcnt(7)
	v_mul_f32_e32 v88, v96, v65
	v_fma_f32 v121, v95, v64, -v88
	v_mul_f32_e32 v122, v95, v65
	s_waitcnt lgkmcnt(6)
	v_mul_f32_e32 v88, v100, v67
	v_fmac_f32_e32 v122, v96, v64
	v_fma_f32 v96, v99, v66, -v88
	v_mul_f32_e32 v99, v99, v67
	s_waitcnt vmcnt(4)
	v_mul_f32_e32 v88, v98, v69
	v_fmac_f32_e32 v99, v100, v66
	v_fma_f32 v100, v97, v68, -v88
	v_mul_f32_e32 v88, v102, v71
	v_fma_f32 v194, v101, v70, -v88
	s_waitcnt vmcnt(3) lgkmcnt(4)
	v_mul_f32_e32 v88, v114, v73
	v_fma_f32 v195, v113, v72, -v88
	v_mul_f32_e32 v209, v113, v73
	s_waitcnt lgkmcnt(3)
	v_mul_f32_e32 v88, v118, v75
	v_fmac_f32_e32 v209, v114, v72
	v_fma_f32 v114, v117, v74, -v88
	v_mul_f32_e32 v117, v117, v75
	s_waitcnt vmcnt(2)
	v_mul_f32_e32 v88, v116, v77
	v_fmac_f32_e32 v117, v118, v74
	v_fma_f32 v118, v115, v76, -v88
	v_mul_f32_e32 v88, v120, v79
	v_fma_f32 v211, v119, v78, -v88
	s_waitcnt vmcnt(1) lgkmcnt(1)
	v_mul_f32_e32 v88, v202, v81
	v_fma_f32 v212, v201, v80, -v88
	v_mul_f32_e32 v201, v201, v81
	s_waitcnt lgkmcnt(0)
	v_mul_f32_e32 v88, v206, v83
	v_fmac_f32_e32 v201, v202, v80
	v_fma_f32 v202, v205, v82, -v88
	v_mul_f32_e32 v205, v205, v83
	s_waitcnt vmcnt(0)
	v_mul_f32_e32 v88, v204, v85
	v_fmac_f32_e32 v205, v206, v82
	v_fma_f32 v206, v203, v84, -v88
	v_mul_f32_e32 v203, v203, v85
	v_mul_f32_e32 v88, v208, v87
	v_add_f32_e32 v89, v121, v96
	v_fmac_f32_e32 v203, v204, v84
	v_fma_f32 v204, v207, v86, -v88
	v_add_f32_e32 v88, v91, v121
	v_fma_f32 v91, -0.5, v89, v91
	v_mul_f32_e32 v123, v97, v69
	v_sub_f32_e32 v89, v122, v99
	v_mov_b32_e32 v95, v91
	v_add_f32_e32 v97, v122, v99
	v_fmac_f32_e32 v95, 0x3f5db3d7, v89
	v_fmac_f32_e32 v91, 0xbf5db3d7, v89
	v_add_f32_e32 v89, v92, v122
	v_fma_f32 v92, -0.5, v97, v92
	v_fmac_f32_e32 v123, v98, v68
	v_mul_f32_e32 v101, v101, v71
	v_add_f32_e32 v88, v88, v96
	v_sub_f32_e32 v97, v121, v96
	v_mov_b32_e32 v96, v92
	v_add_f32_e32 v98, v100, v194
	v_fmac_f32_e32 v101, v102, v70
	v_fmac_f32_e32 v96, 0xbf5db3d7, v97
	v_fmac_f32_e32 v92, 0x3f5db3d7, v97
	v_add_f32_e32 v97, v93, v100
	v_fma_f32 v93, -0.5, v98, v93
	v_add_f32_e32 v89, v89, v99
	v_sub_f32_e32 v98, v123, v101
	v_mov_b32_e32 v99, v93
	v_fmac_f32_e32 v99, 0x3f5db3d7, v98
	v_fmac_f32_e32 v93, 0xbf5db3d7, v98
	v_add_f32_e32 v98, v94, v123
	v_add_f32_e32 v98, v98, v101
	;; [unrolled: 1-line block ×3, first 2 shown]
	v_fmac_f32_e32 v94, -0.5, v101
	v_sub_f32_e32 v101, v100, v194
	v_mov_b32_e32 v100, v94
	v_add_f32_e32 v102, v195, v114
	v_fmac_f32_e32 v100, 0xbf5db3d7, v101
	v_fmac_f32_e32 v94, 0x3f5db3d7, v101
	v_add_f32_e32 v101, v109, v195
	v_fma_f32 v109, -0.5, v102, v109
	v_mul_f32_e32 v210, v115, v77
	v_sub_f32_e32 v102, v209, v117
	v_mov_b32_e32 v113, v109
	v_add_f32_e32 v115, v209, v117
	v_fmac_f32_e32 v113, 0x3f5db3d7, v102
	v_fmac_f32_e32 v109, 0xbf5db3d7, v102
	v_add_f32_e32 v102, v110, v209
	v_fma_f32 v110, -0.5, v115, v110
	v_fmac_f32_e32 v210, v116, v76
	v_mul_f32_e32 v119, v119, v79
	v_add_f32_e32 v101, v101, v114
	v_sub_f32_e32 v115, v195, v114
	v_mov_b32_e32 v114, v110
	v_add_f32_e32 v116, v118, v211
	v_fmac_f32_e32 v119, v120, v78
	v_fmac_f32_e32 v114, 0xbf5db3d7, v115
	;; [unrolled: 1-line block ×3, first 2 shown]
	v_add_f32_e32 v115, v111, v118
	v_fma_f32 v111, -0.5, v116, v111
	v_add_f32_e32 v102, v102, v117
	v_sub_f32_e32 v116, v210, v119
	v_mov_b32_e32 v117, v111
	v_fmac_f32_e32 v117, 0x3f5db3d7, v116
	v_fmac_f32_e32 v111, 0xbf5db3d7, v116
	v_add_f32_e32 v116, v112, v210
	v_add_f32_e32 v122, v201, v205
	;; [unrolled: 1-line block ×4, first 2 shown]
	v_fma_f32 v122, -0.5, v122, v198
	v_fmac_f32_e32 v112, -0.5, v119
	v_sub_f32_e32 v123, v212, v202
	v_mov_b32_e32 v195, v122
	v_sub_f32_e32 v119, v118, v211
	v_mov_b32_e32 v118, v112
	v_add_f32_e32 v120, v212, v202
	v_fmac_f32_e32 v195, 0xbf5db3d7, v123
	v_fmac_f32_e32 v122, 0x3f5db3d7, v123
	v_add_f32_e32 v123, v199, v206
	v_mul_f32_e32 v207, v207, v87
	v_fmac_f32_e32 v118, 0xbf5db3d7, v119
	v_fmac_f32_e32 v112, 0x3f5db3d7, v119
	v_add_f32_e32 v119, v197, v212
	v_fma_f32 v121, -0.5, v120, v197
	v_add_f32_e32 v197, v123, v204
	v_add_f32_e32 v123, v206, v204
	v_fmac_f32_e32 v207, v208, v86
	v_add_f32_e32 v97, v97, v194
	v_sub_f32_e32 v120, v201, v205
	v_mov_b32_e32 v194, v121
	v_fma_f32 v199, -0.5, v123, v199
	v_fmac_f32_e32 v194, 0x3f5db3d7, v120
	v_fmac_f32_e32 v121, 0xbf5db3d7, v120
	v_add_f32_e32 v120, v198, v201
	v_sub_f32_e32 v123, v203, v207
	v_mov_b32_e32 v201, v199
	v_fmac_f32_e32 v201, 0x3f5db3d7, v123
	v_fmac_f32_e32 v199, 0xbf5db3d7, v123
	v_add_f32_e32 v123, v200, v203
	v_add_f32_e32 v198, v123, v207
	v_add_f32_e32 v123, v203, v207
	v_fmac_f32_e32 v200, -0.5, v123
	v_add_f32_e32 v115, v115, v211
	v_add_f32_e32 v119, v119, v202
	v_sub_f32_e32 v123, v206, v204
	v_mov_b32_e32 v202, v200
	ds_write_b64 v180, v[95:96] offset:3168
	ds_write_b64 v180, v[91:92] offset:6336
	ds_write2_b64 v180, v[88:89], v[97:98] offset1:66
	ds_write_b64 v180, v[99:100] offset:3696
	ds_write_b64 v180, v[93:94] offset:6864
	ds_write2_b64 v180, v[101:102], v[115:116] offset0:132 offset1:198
	v_add_u32_e32 v88, 0x1000, v196
	v_add_u32_e32 v89, 0x1800, v196
	v_add_f32_e32 v120, v120, v205
	v_fmac_f32_e32 v202, 0xbf5db3d7, v123
	v_fmac_f32_e32 v200, 0x3f5db3d7, v123
	ds_write2_b64 v88, v[113:114], v[117:118] offset0:16 offset1:82
	ds_write2_b64 v89, v[109:110], v[111:112] offset0:156 offset1:222
	;; [unrolled: 1-line block ×4, first 2 shown]
	v_add_u32_e32 v88, 0x2000, v196
	ds_write2_b64 v88, v[121:122], v[199:200] offset0:32 offset1:98
	v_add_co_u32_e32 v88, vcc, s8, v103
	v_addc_co_u32_e32 v89, vcc, 0, v107, vcc
	s_waitcnt lgkmcnt(0)
	s_barrier
	global_load_dwordx2 v[88:89], v[88:89], off offset:1312
	s_movk_i32 s8, 0x2520
	v_add_co_u32_e32 v91, vcc, s8, v103
	v_addc_co_u32_e32 v92, vcc, 0, v107, vcc
	global_load_dwordx2 v[109:110], v[91:92], off offset:1584
	global_load_dwordx2 v[113:114], v[91:92], off offset:3168
	s_movk_i32 s8, 0x3000
	v_add_co_u32_e32 v93, vcc, s8, v103
	v_addc_co_u32_e32 v94, vcc, 0, v107, vcc
	global_load_dwordx2 v[115:116], v[93:94], off offset:1968
	;; [unrolled: 5-line block ×3, first 2 shown]
	global_load_dwordx2 v[121:122], v[91:92], off offset:528
	global_load_dwordx2 v[194:195], v[91:92], off offset:2112
	;; [unrolled: 1-line block ×10, first 2 shown]
	ds_read2_b64 v[91:94], v180 offset1:66
	global_load_dwordx2 v[213:214], v[99:100], off offset:512
	ds_read2_b64 v[95:98], v180 offset0:132 offset1:198
	s_waitcnt vmcnt(16) lgkmcnt(1)
	v_mul_f32_e32 v101, v92, v89
	v_mul_f32_e32 v216, v91, v89
	v_fma_f32 v215, v91, v88, -v101
	v_fmac_f32_e32 v216, v92, v88
	global_load_dwordx2 v[88:89], v[99:100], off offset:2096
	s_waitcnt vmcnt(16) lgkmcnt(0)
	v_mul_f32_e32 v91, v98, v110
	ds_read2_b64 v[99:102], v60 offset0:140 offset1:206
	v_mul_f32_e32 v218, v97, v110
	v_fma_f32 v217, v97, v109, -v91
	v_fmac_f32_e32 v218, v98, v109
	ds_read2_b64 v[109:112], v108 offset0:16 offset1:82
	s_waitcnt vmcnt(15) lgkmcnt(1)
	v_mul_f32_e32 v91, v100, v114
	v_mul_f32_e32 v220, v99, v114
	v_fma_f32 v219, v99, v113, -v91
	v_fmac_f32_e32 v220, v100, v113
	s_waitcnt vmcnt(14) lgkmcnt(0)
	v_mul_f32_e32 v91, v112, v116
	ds_read2_b64 v[97:100], v61 offset0:24 offset1:90
	v_mul_f32_e32 v222, v111, v116
	v_fma_f32 v221, v111, v115, -v91
	v_fmac_f32_e32 v222, v112, v115
	ds_read2_b64 v[111:114], v61 offset0:156 offset1:222
	s_waitcnt vmcnt(13) lgkmcnt(1)
	v_mul_f32_e32 v91, v98, v118
	v_mul_f32_e32 v224, v97, v118
	v_fma_f32 v223, v97, v117, -v91
	v_fmac_f32_e32 v224, v98, v117
	s_waitcnt vmcnt(12) lgkmcnt(0)
	v_mul_f32_e32 v91, v114, v120
	v_mul_f32_e32 v98, v113, v120
	v_fma_f32 v97, v113, v119, -v91
	v_fmac_f32_e32 v98, v114, v119
	ds_read2_b64 v[113:116], v60 offset0:8 offset1:74
	s_waitcnt vmcnt(11)
	v_mul_f32_e32 v91, v94, v122
	v_mul_f32_e32 v92, v93, v122
	v_fma_f32 v91, v93, v121, -v91
	v_fmac_f32_e32 v92, v94, v121
	ds_write2_b64 v180, v[215:216], v[91:92] offset1:66
	s_waitcnt vmcnt(10) lgkmcnt(1)
	v_mul_f32_e32 v91, v114, v195
	v_fma_f32 v121, v113, v194, -v91
	ds_read2_b64 v[91:94], v108 offset0:148 offset1:214
	v_mul_f32_e32 v122, v113, v195
	v_fmac_f32_e32 v122, v114, v194
	s_waitcnt vmcnt(9)
	v_mul_f32_e32 v103, v102, v198
	v_mul_f32_e32 v114, v101, v198
	v_fma_f32 v113, v101, v197, -v103
	v_fmac_f32_e32 v114, v102, v197
	s_waitcnt vmcnt(8) lgkmcnt(0)
	v_mul_f32_e32 v101, v92, v200
	v_mul_f32_e32 v102, v91, v200
	v_fma_f32 v101, v91, v199, -v101
	v_fmac_f32_e32 v102, v92, v199
	s_waitcnt vmcnt(7)
	v_mul_f32_e32 v91, v100, v202
	v_mul_f32_e32 v92, v99, v202
	v_fma_f32 v91, v99, v201, -v91
	v_fmac_f32_e32 v92, v100, v201
	s_waitcnt vmcnt(5)
	;; [unrolled: 5-line block ×3, first 2 shown]
	v_mul_f32_e32 v95, v116, v208
	v_mul_f32_e32 v96, v115, v208
	v_fma_f32 v95, v115, v207, -v95
	v_fmac_f32_e32 v96, v116, v207
	ds_read2_b64 v[117:120], v90 offset0:32 offset1:98
	ds_write2_b64 v60, v[121:122], v[95:96] offset0:8 offset1:74
	s_waitcnt vmcnt(2)
	v_mul_f32_e32 v95, v110, v212
	v_mul_f32_e32 v96, v109, v212
	v_fma_f32 v95, v109, v211, -v95
	v_fmac_f32_e32 v96, v110, v211
	ds_write2_b64 v108, v[95:96], v[221:222] offset0:16 offset1:82
	v_mul_f32_e32 v95, v94, v210
	v_mul_f32_e32 v96, v93, v210
	v_fma_f32 v95, v93, v209, -v95
	v_fmac_f32_e32 v96, v94, v209
	s_waitcnt vmcnt(1)
	v_mul_f32_e32 v93, v112, v214
	v_mul_f32_e32 v94, v111, v214
	v_fma_f32 v93, v111, v213, -v93
	v_fmac_f32_e32 v94, v112, v213
	ds_write2_b64 v61, v[223:224], v[91:92] offset0:24 offset1:90
	s_waitcnt lgkmcnt(3)
	v_mul_f32_e32 v91, v118, v204
	v_mul_f32_e32 v92, v117, v204
	ds_write2_b64 v61, v[93:94], v[97:98] offset0:156 offset1:222
	v_fma_f32 v91, v117, v203, -v91
	v_fmac_f32_e32 v92, v118, v203
	ds_write2_b64 v60, v[219:220], v[113:114] offset0:140 offset1:206
	ds_write2_b64 v180, v[99:100], v[217:218] offset0:132 offset1:198
	;; [unrolled: 1-line block ×3, first 2 shown]
	s_waitcnt vmcnt(0)
	v_mul_f32_e32 v93, v120, v89
	v_mul_f32_e32 v94, v119, v89
	v_fma_f32 v93, v119, v88, -v93
	v_fmac_f32_e32 v94, v120, v88
	ds_write2_b64 v90, v[91:92], v[93:94] offset0:32 offset1:98
	s_waitcnt lgkmcnt(0)
	s_barrier
	ds_read2_b64 v[91:94], v180 offset1:66
	ds_read2_b64 v[109:112], v180 offset0:132 offset1:198
	ds_read2_b64 v[95:98], v60 offset0:140 offset1:206
	;; [unrolled: 1-line block ×8, first 2 shown]
	s_waitcnt lgkmcnt(4)
	v_add_f32_e32 v89, v95, v113
	v_fma_f32 v89, -0.5, v89, v91
	v_add_f32_e32 v88, v91, v95
	v_sub_f32_e32 v90, v96, v114
	v_mov_b32_e32 v91, v89
	s_waitcnt lgkmcnt(3)
	v_add_f32_e32 v103, v101, v119
	v_fmac_f32_e32 v91, 0xbf5db3d7, v90
	v_fmac_f32_e32 v89, 0x3f5db3d7, v90
	v_add_f32_e32 v90, v92, v96
	v_add_f32_e32 v96, v96, v114
	v_fma_f32 v103, -0.5, v103, v111
	v_add_f32_e32 v90, v90, v114
	v_fma_f32 v92, -0.5, v96, v92
	v_sub_f32_e32 v107, v102, v120
	v_mov_b32_e32 v114, v103
	v_sub_f32_e32 v95, v95, v113
	v_mov_b32_e32 v96, v92
	v_fmac_f32_e32 v114, 0xbf5db3d7, v107
	v_fmac_f32_e32 v103, 0x3f5db3d7, v107
	v_add_f32_e32 v107, v112, v102
	v_add_f32_e32 v102, v102, v120
	v_fmac_f32_e32 v96, 0x3f5db3d7, v95
	v_fmac_f32_e32 v92, 0xbf5db3d7, v95
	v_add_f32_e32 v95, v111, v101
	v_fma_f32 v102, -0.5, v102, v112
	v_sub_f32_e32 v101, v101, v119
	v_add_f32_e32 v107, v107, v120
	v_mov_b32_e32 v120, v102
	v_fmac_f32_e32 v102, 0xbf5db3d7, v101
	v_mul_f32_e32 v122, 0xbf5db3d7, v102
	v_fmac_f32_e32 v120, 0x3f5db3d7, v101
	v_fmac_f32_e32 v122, -0.5, v103
	v_add_f32_e32 v95, v95, v119
	v_mul_f32_e32 v101, 0xbf5db3d7, v120
	v_add_f32_e32 v119, v89, v122
	v_sub_f32_e32 v211, v89, v122
	v_add_f32_e32 v89, v97, v115
	v_fmac_f32_e32 v101, 0.5, v114
	v_fma_f32 v89, -0.5, v89, v93
	v_add_f32_e32 v88, v88, v113
	v_add_f32_e32 v113, v91, v101
	v_add_f32_e32 v112, v90, v107
	v_mul_f32_e32 v102, -0.5, v102
	v_sub_f32_e32 v209, v91, v101
	v_sub_f32_e32 v122, v90, v107
	;; [unrolled: 1-line block ×3, first 2 shown]
	v_mov_b32_e32 v91, v89
	v_fmac_f32_e32 v102, 0x3f5db3d7, v103
	v_fmac_f32_e32 v91, 0xbf5db3d7, v90
	;; [unrolled: 1-line block ×3, first 2 shown]
	v_add_f32_e32 v90, v94, v98
	v_mul_f32_e32 v123, 0.5, v120
	v_add_f32_e32 v120, v92, v102
	v_sub_f32_e32 v212, v92, v102
	v_add_f32_e32 v92, v90, v116
	v_add_f32_e32 v90, v98, v116
	s_waitcnt lgkmcnt(0)
	v_add_f32_e32 v98, v202, v206
	v_add_f32_e32 v111, v88, v95
	v_sub_f32_e32 v121, v88, v95
	v_add_f32_e32 v95, v201, v205
	v_fma_f32 v98, -0.5, v98, v198
	v_fmac_f32_e32 v123, 0x3f5db3d7, v114
	v_fmac_f32_e32 v94, -0.5, v90
	v_fma_f32 v95, -0.5, v95, v197
	v_sub_f32_e32 v101, v201, v205
	v_mov_b32_e32 v102, v98
	v_add_f32_e32 v114, v96, v123
	v_sub_f32_e32 v210, v96, v123
	v_add_f32_e32 v88, v93, v97
	v_sub_f32_e32 v90, v97, v115
	v_mov_b32_e32 v93, v94
	v_sub_f32_e32 v96, v202, v206
	v_mov_b32_e32 v97, v95
	v_fmac_f32_e32 v102, 0x3f5db3d7, v101
	v_fmac_f32_e32 v98, 0xbf5db3d7, v101
	;; [unrolled: 1-line block ×4, first 2 shown]
	v_add_f32_e32 v90, v197, v201
	v_fmac_f32_e32 v97, 0xbf5db3d7, v96
	v_fmac_f32_e32 v95, 0x3f5db3d7, v96
	v_mul_f32_e32 v101, 0xbf5db3d7, v102
	v_mul_f32_e32 v103, 0xbf5db3d7, v98
	v_mul_f32_e32 v102, 0.5, v102
	v_add_f32_e32 v88, v88, v115
	v_add_f32_e32 v90, v90, v205
	v_add_f32_e32 v96, v198, v202
	v_fmac_f32_e32 v103, -0.5, v95
	v_fmac_f32_e32 v102, 0x3f5db3d7, v97
	v_add_f32_e32 v96, v96, v206
	v_add_f32_e32 v213, v88, v90
	v_fmac_f32_e32 v101, 0.5, v97
	v_add_f32_e32 v217, v89, v103
	v_add_f32_e32 v216, v93, v102
	v_mul_f32_e32 v97, -0.5, v98
	v_sub_f32_e32 v219, v88, v90
	v_sub_f32_e32 v90, v89, v103
	;; [unrolled: 1-line block ×3, first 2 shown]
	v_add_f32_e32 v93, v99, v117
	v_add_f32_e32 v214, v92, v96
	v_fmac_f32_e32 v97, 0x3f5db3d7, v95
	v_sub_f32_e32 v220, v92, v96
	v_fma_f32 v93, -0.5, v93, v109
	v_add_f32_e32 v96, v203, v207
	v_add_f32_e32 v215, v91, v101
	v_add_f32_e32 v218, v94, v97
	v_sub_f32_e32 v88, v91, v101
	v_sub_f32_e32 v91, v94, v97
	;; [unrolled: 1-line block ×3, first 2 shown]
	v_mov_b32_e32 v95, v93
	v_fma_f32 v97, -0.5, v96, v199
	v_fmac_f32_e32 v95, 0xbf5db3d7, v94
	v_fmac_f32_e32 v93, 0x3f5db3d7, v94
	v_add_f32_e32 v94, v110, v100
	v_sub_f32_e32 v96, v204, v208
	v_mov_b32_e32 v98, v97
	v_add_f32_e32 v107, v94, v118
	v_add_f32_e32 v94, v100, v118
	v_fmac_f32_e32 v98, 0xbf5db3d7, v96
	v_fmac_f32_e32 v97, 0x3f5db3d7, v96
	v_add_f32_e32 v96, v200, v204
	v_add_f32_e32 v92, v109, v99
	v_fmac_f32_e32 v110, -0.5, v94
	v_sub_f32_e32 v94, v99, v117
	v_add_f32_e32 v99, v96, v208
	v_add_f32_e32 v96, v204, v208
	v_fmac_f32_e32 v200, -0.5, v96
	v_sub_f32_e32 v96, v203, v207
	v_mov_b32_e32 v103, v200
	v_mov_b32_e32 v109, v110
	v_fmac_f32_e32 v103, 0x3f5db3d7, v96
	v_fmac_f32_e32 v200, 0xbf5db3d7, v96
	v_add_f32_e32 v92, v92, v117
	v_fmac_f32_e32 v109, 0x3f5db3d7, v94
	v_fmac_f32_e32 v110, 0xbf5db3d7, v94
	v_add_f32_e32 v94, v199, v203
	v_mul_f32_e32 v115, 0xbf5db3d7, v103
	v_mul_f32_e32 v116, 0xbf5db3d7, v200
	v_mul_f32_e32 v117, 0.5, v103
	v_mul_f32_e32 v118, -0.5, v200
	v_add_f32_e32 v94, v94, v207
	v_fmac_f32_e32 v115, 0.5, v98
	v_fmac_f32_e32 v116, -0.5, v97
	v_fmac_f32_e32 v117, 0x3f5db3d7, v98
	v_fmac_f32_e32 v118, 0x3f5db3d7, v97
	v_add_f32_e32 v100, v92, v94
	v_add_f32_e32 v102, v95, v115
	;; [unrolled: 1-line block ×6, first 2 shown]
	v_sub_f32_e32 v98, v92, v94
	v_sub_f32_e32 v92, v95, v115
	v_sub_f32_e32 v94, v93, v116
	v_sub_f32_e32 v99, v107, v99
	v_sub_f32_e32 v93, v109, v117
	v_sub_f32_e32 v95, v110, v118
	s_barrier
	ds_write_b128 v104, v[111:114]
	ds_write_b128 v104, v[119:122] offset:16
	ds_write_b128 v104, v[209:212] offset:32
	ds_write_b128 v105, v[213:216]
	ds_write_b128 v105, v[217:220] offset:16
	ds_write_b128 v105, v[88:91] offset:32
	;; [unrolled: 3-line block ×3, first 2 shown]
	v_add_u32_e32 v88, 0x400, v180
	v_add_u32_e32 v194, 0xc00, v180
	s_waitcnt lgkmcnt(0)
	s_barrier
	ds_read2_b64 v[104:107], v180 offset1:108
	ds_read2_b64 v[120:123], v88 offset0:88 offset1:196
	ds_read2_b64 v[116:119], v194 offset0:48 offset1:156
	;; [unrolled: 1-line block ×4, first 2 shown]
	ds_read_b64 v[88:89], v180 offset:8640
	s_and_saveexec_b64 s[8:9], s[0:1]
	s_cbranch_execz .LBB0_7
; %bb.6:
	v_add_u32_e32 v52, 0x1400, v180
	ds_read2_b64 v[197:200], v180 offset0:66 offset1:174
	ds_read2_b64 v[100:103], v60 offset0:26 offset1:134
	;; [unrolled: 1-line block ×4, first 2 shown]
	v_add_u32_e32 v52, 0x1c00, v180
	ds_read2_b64 v[52:55], v52 offset0:34 offset1:142
	ds_read_b64 v[177:178], v180 offset:9168
	s_waitcnt lgkmcnt(3)
	v_mov_b32_e32 v94, v60
	v_mov_b32_e32 v95, v61
	s_waitcnt lgkmcnt(2)
	v_mov_b32_e32 v98, v90
	v_mov_b32_e32 v99, v91
	;; [unrolled: 1-line block ×10, first 2 shown]
.LBB0_7:
	s_or_b64 exec, exec, s[8:9]
	v_add_u32_e32 v195, 0x420, v196
	v_add_u32_e32 v194, 0x630, v196
	;; [unrolled: 1-line block ×4, first 2 shown]
	s_waitcnt lgkmcnt(5)
	v_mul_f32_e32 v196, v33, v107
	v_mul_f32_e32 v33, v33, v106
	v_fmac_f32_e32 v196, v32, v106
	v_fma_f32 v32, v32, v107, -v33
	s_waitcnt lgkmcnt(4)
	v_mul_f32_e32 v33, v35, v121
	v_mul_f32_e32 v35, v35, v120
	v_fmac_f32_e32 v33, v34, v120
	v_fma_f32 v34, v34, v121, -v35
	v_mul_f32_e32 v35, v29, v123
	v_mul_f32_e32 v29, v29, v122
	v_fmac_f32_e32 v35, v28, v122
	v_fma_f32 v28, v28, v123, -v29
	s_waitcnt lgkmcnt(3)
	v_mul_f32_e32 v29, v31, v117
	v_mul_f32_e32 v31, v31, v116
	v_fmac_f32_e32 v29, v30, v116
	v_fma_f32 v30, v30, v117, -v31
	;; [unrolled: 9-line block ×4, first 2 shown]
	v_mul_f32_e32 v23, v37, v111
	v_mul_f32_e32 v20, v37, v110
	v_fmac_f32_e32 v23, v36, v110
	v_fma_f32 v36, v36, v111, -v20
	s_waitcnt lgkmcnt(0)
	v_mul_f32_e32 v37, v39, v89
	v_mul_f32_e32 v20, v39, v88
	v_add_f32_e32 v21, v105, v32
	v_fmac_f32_e32 v37, v38, v88
	v_fma_f32 v38, v38, v89, -v20
	v_add_f32_e32 v20, v104, v196
	v_add_f32_e32 v21, v21, v34
	;; [unrolled: 1-line block ×17, first 2 shown]
	v_sub_f32_e32 v32, v32, v38
	v_add_f32_e32 v20, v20, v23
	v_add_f32_e32 v21, v21, v38
	v_mul_f32_e32 v38, 0xbf0a6770, v32
	v_mul_f32_e32 v110, 0xbf68dda4, v32
	;; [unrolled: 1-line block ×5, first 2 shown]
	v_add_f32_e32 v20, v20, v37
	v_add_f32_e32 v39, v196, v37
	v_sub_f32_e32 v37, v196, v37
	s_mov_b32 s10, 0x3f575c64
	v_mov_b32_e32 v89, v38
	v_mul_f32_e32 v108, 0x3f575c64, v88
	s_mov_b32 s11, 0x3ed4b147
	v_mov_b32_e32 v111, v110
	v_mul_f32_e32 v112, 0x3ed4b147, v88
	;; [unrolled: 3-line block ×5, first 2 shown]
	v_fmac_f32_e32 v89, 0x3f575c64, v39
	v_mov_b32_e32 v109, v108
	v_fma_f32 v38, v39, s10, -v38
	v_fmac_f32_e32 v111, 0x3ed4b147, v39
	v_mov_b32_e32 v113, v112
	v_fma_f32 v110, v39, s11, -v110
	;; [unrolled: 3-line block ×5, first 2 shown]
	v_fmac_f32_e32 v88, 0xbe903f40, v37
	v_add_f32_e32 v39, v33, v23
	v_sub_f32_e32 v23, v33, v23
	v_sub_f32_e32 v33, v34, v36
	v_fmac_f32_e32 v109, 0x3f0a6770, v37
	v_fmac_f32_e32 v108, 0xbf0a6770, v37
	;; [unrolled: 1-line block ×9, first 2 shown]
	v_add_f32_e32 v37, v105, v88
	v_add_f32_e32 v88, v34, v36
	v_mul_f32_e32 v34, 0xbf68dda4, v33
	v_mov_b32_e32 v36, v34
	v_add_f32_e32 v89, v104, v89
	v_fmac_f32_e32 v36, 0x3ed4b147, v39
	v_add_f32_e32 v36, v36, v89
	v_mul_f32_e32 v89, 0x3ed4b147, v88
	v_add_f32_e32 v38, v104, v38
	v_add_f32_e32 v108, v105, v108
	;; [unrolled: 1-line block ×10, first 2 shown]
	v_mov_b32_e32 v104, v89
	v_fma_f32 v34, v39, s11, -v34
	v_fmac_f32_e32 v89, 0xbf68dda4, v23
	v_add_f32_e32 v34, v34, v38
	v_add_f32_e32 v38, v89, v108
	v_mul_f32_e32 v89, 0xbf4178ce, v33
	v_add_f32_e32 v109, v105, v109
	v_add_f32_e32 v113, v105, v113
	;; [unrolled: 1-line block ×8, first 2 shown]
	v_mov_b32_e32 v105, v89
	v_fma_f32 v89, v39, s13, -v89
	v_fmac_f32_e32 v104, 0x3f68dda4, v23
	v_fmac_f32_e32 v105, 0xbf27a4f4, v39
	v_mul_f32_e32 v108, 0xbf27a4f4, v88
	v_add_f32_e32 v89, v89, v110
	v_mul_f32_e32 v110, 0x3e903f40, v33
	v_add_f32_e32 v104, v104, v109
	v_add_f32_e32 v105, v105, v111
	v_mov_b32_e32 v109, v108
	v_fmac_f32_e32 v108, 0xbf4178ce, v23
	v_mov_b32_e32 v111, v110
	v_fma_f32 v110, v39, s14, -v110
	v_fmac_f32_e32 v109, 0x3f4178ce, v23
	v_add_f32_e32 v108, v108, v112
	v_fmac_f32_e32 v111, 0xbf75a155, v39
	v_mul_f32_e32 v112, 0xbf75a155, v88
	v_add_f32_e32 v110, v110, v114
	v_mul_f32_e32 v114, 0x3f7d64f0, v33
	v_add_f32_e32 v109, v109, v113
	v_add_f32_e32 v111, v111, v115
	v_mov_b32_e32 v113, v112
	v_fmac_f32_e32 v112, 0x3e903f40, v23
	v_mov_b32_e32 v115, v114
	v_fmac_f32_e32 v113, 0xbe903f40, v23
	v_add_f32_e32 v112, v112, v116
	v_fmac_f32_e32 v115, 0xbe11bafb, v39
	v_mul_f32_e32 v116, 0xbe11bafb, v88
	v_mul_f32_e32 v88, 0x3f575c64, v88
	v_add_f32_e32 v113, v113, v117
	v_add_f32_e32 v115, v115, v119
	v_mov_b32_e32 v117, v116
	v_mov_b32_e32 v119, v88
	v_fmac_f32_e32 v88, 0x3f0a6770, v23
	v_fmac_f32_e32 v117, 0xbf7d64f0, v23
	v_fma_f32 v114, v39, s12, -v114
	v_fmac_f32_e32 v116, 0x3f7d64f0, v23
	v_mul_f32_e32 v33, 0x3f0a6770, v33
	v_fmac_f32_e32 v119, 0xbf0a6770, v23
	v_add_f32_e32 v23, v88, v37
	v_add_f32_e32 v37, v28, v22
	v_sub_f32_e32 v22, v28, v22
	v_add_f32_e32 v114, v114, v118
	v_mov_b32_e32 v118, v33
	v_fma_f32 v33, v39, s10, -v33
	v_mul_f32_e32 v28, 0xbf7d64f0, v22
	v_fmac_f32_e32 v118, 0x3f575c64, v39
	v_add_f32_e32 v32, v33, v32
	v_add_f32_e32 v33, v35, v107
	v_mov_b32_e32 v39, v28
	v_fmac_f32_e32 v39, 0xbe11bafb, v33
	v_sub_f32_e32 v35, v35, v107
	v_add_f32_e32 v36, v39, v36
	v_mul_f32_e32 v39, 0xbe11bafb, v37
	v_mov_b32_e32 v88, v39
	v_fma_f32 v28, v33, s12, -v28
	v_fmac_f32_e32 v39, 0xbf7d64f0, v35
	v_add_f32_e32 v28, v28, v34
	v_add_f32_e32 v34, v39, v38
	v_mul_f32_e32 v38, 0x3e903f40, v22
	v_fmac_f32_e32 v88, 0x3f7d64f0, v35
	v_mov_b32_e32 v39, v38
	v_add_f32_e32 v88, v88, v104
	v_fmac_f32_e32 v39, 0xbf75a155, v33
	v_mul_f32_e32 v104, 0xbf75a155, v37
	v_add_f32_e32 v39, v39, v105
	v_mov_b32_e32 v105, v104
	v_fma_f32 v38, v33, s14, -v38
	v_fmac_f32_e32 v104, 0x3e903f40, v35
	v_add_f32_e32 v38, v38, v89
	v_add_f32_e32 v89, v104, v108
	v_mul_f32_e32 v104, 0x3f68dda4, v22
	v_mov_b32_e32 v107, v104
	v_fma_f32 v104, v33, s11, -v104
	v_fmac_f32_e32 v107, 0x3ed4b147, v33
	v_add_f32_e32 v104, v104, v110
	v_mul_f32_e32 v110, 0xbf0a6770, v22
	v_fmac_f32_e32 v105, 0xbe903f40, v35
	v_add_f32_e32 v107, v107, v111
	v_mul_f32_e32 v108, 0x3ed4b147, v37
	v_mov_b32_e32 v111, v110
	v_fma_f32 v110, v33, s10, -v110
	v_mul_f32_e32 v22, 0xbf4178ce, v22
	v_add_f32_e32 v105, v105, v109
	v_mov_b32_e32 v109, v108
	v_fmac_f32_e32 v108, 0x3f68dda4, v35
	v_add_f32_e32 v110, v110, v114
	v_mov_b32_e32 v114, v22
	v_fma_f32 v22, v33, s13, -v22
	v_fmac_f32_e32 v109, 0xbf68dda4, v35
	v_add_f32_e32 v108, v108, v112
	v_fmac_f32_e32 v111, 0x3f575c64, v33
	v_mul_f32_e32 v112, 0x3f575c64, v37
	v_mul_f32_e32 v37, 0xbf27a4f4, v37
	v_add_f32_e32 v22, v22, v32
	v_add_f32_e32 v32, v29, v27
	v_sub_f32_e32 v27, v29, v27
	v_sub_f32_e32 v29, v30, v106
	v_add_f32_e32 v109, v109, v113
	v_add_f32_e32 v111, v111, v115
	v_mov_b32_e32 v113, v112
	v_fmac_f32_e32 v114, 0xbf27a4f4, v33
	v_mov_b32_e32 v115, v37
	v_add_f32_e32 v33, v30, v106
	v_mul_f32_e32 v30, 0xbf4178ce, v29
	v_fmac_f32_e32 v113, 0x3f0a6770, v35
	v_fmac_f32_e32 v112, 0xbf0a6770, v35
	;; [unrolled: 1-line block ×4, first 2 shown]
	v_mov_b32_e32 v35, v30
	v_fmac_f32_e32 v35, 0xbf27a4f4, v32
	v_add_f32_e32 v35, v35, v36
	v_mul_f32_e32 v36, 0xbf27a4f4, v33
	v_add_f32_e32 v23, v37, v23
	v_mov_b32_e32 v37, v36
	v_fma_f32 v30, v32, s13, -v30
	v_fmac_f32_e32 v36, 0xbf4178ce, v27
	v_add_f32_e32 v28, v30, v28
	v_add_f32_e32 v30, v36, v34
	v_mul_f32_e32 v34, 0x3f7d64f0, v29
	v_mov_b32_e32 v36, v34
	v_fmac_f32_e32 v36, 0xbe11bafb, v32
	v_fmac_f32_e32 v37, 0x3f4178ce, v27
	v_add_f32_e32 v36, v36, v39
	v_mul_f32_e32 v39, 0xbe11bafb, v33
	v_add_f32_e32 v37, v37, v88
	v_mov_b32_e32 v88, v39
	v_fmac_f32_e32 v88, 0xbf7d64f0, v27
	v_fma_f32 v34, v32, s12, -v34
	v_fmac_f32_e32 v39, 0x3f7d64f0, v27
	v_add_f32_e32 v88, v88, v105
	v_add_f32_e32 v34, v34, v38
	;; [unrolled: 1-line block ×3, first 2 shown]
	v_mul_f32_e32 v39, 0xbf0a6770, v29
	v_mul_f32_e32 v105, 0x3f575c64, v33
	v_mov_b32_e32 v89, v39
	v_mov_b32_e32 v106, v105
	v_fma_f32 v39, v32, s10, -v39
	v_fmac_f32_e32 v105, 0xbf0a6770, v27
	v_fmac_f32_e32 v89, 0x3f575c64, v32
	v_add_f32_e32 v39, v39, v104
	v_add_f32_e32 v104, v105, v108
	v_mul_f32_e32 v105, 0xbe903f40, v29
	v_add_f32_e32 v89, v89, v107
	v_mov_b32_e32 v107, v105
	v_fmac_f32_e32 v107, 0xbf75a155, v32
	v_mul_f32_e32 v108, 0xbf75a155, v33
	v_fma_f32 v105, v32, s14, -v105
	v_mul_f32_e32 v29, 0x3f68dda4, v29
	v_mul_f32_e32 v33, 0x3ed4b147, v33
	v_add_f32_e32 v117, v117, v121
	v_add_f32_e32 v118, v118, v122
	;; [unrolled: 1-line block ×5, first 2 shown]
	v_mov_b32_e32 v110, v29
	v_mov_b32_e32 v111, v33
	v_add_f32_e32 v116, v116, v120
	v_add_f32_e32 v113, v113, v117
	;; [unrolled: 1-line block ×4, first 2 shown]
	v_fmac_f32_e32 v106, 0x3f0a6770, v27
	v_fmac_f32_e32 v110, 0x3ed4b147, v32
	;; [unrolled: 1-line block ×3, first 2 shown]
	v_sub_f32_e32 v117, v24, v26
	v_add_f32_e32 v112, v112, v116
	v_add_f32_e32 v106, v106, v109
	v_mov_b32_e32 v109, v108
	v_fmac_f32_e32 v108, 0xbe903f40, v27
	v_add_f32_e32 v110, v110, v114
	v_add_f32_e32 v111, v111, v115
	v_fma_f32 v29, v32, s11, -v29
	v_add_f32_e32 v114, v31, v25
	v_add_f32_e32 v115, v24, v26
	v_mul_f32_e32 v24, 0xbe903f40, v117
	v_fmac_f32_e32 v109, 0x3e903f40, v27
	v_add_f32_e32 v108, v108, v112
	v_add_f32_e32 v112, v29, v22
	v_fmac_f32_e32 v33, 0x3f68dda4, v27
	v_sub_f32_e32 v116, v31, v25
	v_mov_b32_e32 v22, v24
	v_mul_f32_e32 v25, 0xbf75a155, v115
	v_fma_f32 v24, v114, s14, -v24
	v_add_f32_e32 v109, v109, v113
	v_add_f32_e32 v113, v33, v23
	v_mov_b32_e32 v23, v25
	v_add_f32_e32 v24, v24, v28
	v_fmac_f32_e32 v25, 0xbe903f40, v116
	v_mul_f32_e32 v28, 0x3f0a6770, v117
	v_mul_f32_e32 v29, 0x3f575c64, v115
	;; [unrolled: 1-line block ×3, first 2 shown]
	v_add_f32_e32 v25, v25, v30
	v_mov_b32_e32 v26, v28
	v_mov_b32_e32 v27, v29
	v_mov_b32_e32 v30, v32
	v_fmac_f32_e32 v23, 0x3e903f40, v116
	v_fmac_f32_e32 v26, 0x3f575c64, v114
	;; [unrolled: 1-line block ×5, first 2 shown]
	v_add_f32_e32 v23, v23, v37
	v_add_f32_e32 v26, v26, v36
	;; [unrolled: 1-line block ×3, first 2 shown]
	v_fma_f32 v28, v114, s10, -v28
	v_fmac_f32_e32 v29, 0x3f0a6770, v116
	v_add_f32_e32 v30, v30, v89
	v_mul_f32_e32 v33, 0xbf27a4f4, v115
	v_fma_f32 v32, v114, s13, -v32
	v_mul_f32_e32 v36, 0x3f68dda4, v117
	v_mul_f32_e32 v37, 0x3ed4b147, v115
	;; [unrolled: 1-line block ×4, first 2 shown]
	v_add_f32_e32 v22, v22, v35
	v_add_f32_e32 v28, v28, v34
	;; [unrolled: 1-line block ×3, first 2 shown]
	v_mov_b32_e32 v31, v33
	v_add_f32_e32 v32, v32, v39
	v_mov_b32_e32 v34, v36
	v_mov_b32_e32 v35, v37
	;; [unrolled: 1-line block ×4, first 2 shown]
	v_fmac_f32_e32 v31, 0x3f4178ce, v116
	v_fmac_f32_e32 v33, 0xbf4178ce, v116
	;; [unrolled: 1-line block ×4, first 2 shown]
	v_fma_f32 v36, v114, s11, -v36
	v_fmac_f32_e32 v37, 0x3f68dda4, v116
	v_fmac_f32_e32 v38, 0xbe11bafb, v114
	;; [unrolled: 1-line block ×3, first 2 shown]
	v_fma_f32 v88, v114, s12, -v88
	v_fmac_f32_e32 v89, 0xbf7d64f0, v116
	v_add_f32_e32 v31, v31, v106
	v_add_f32_e32 v33, v33, v104
	;; [unrolled: 1-line block ×10, first 2 shown]
	s_barrier
	ds_write2_b64 v184, v[20:21], v[22:23] offset1:6
	ds_write2_b64 v184, v[26:27], v[30:31] offset0:12 offset1:18
	ds_write2_b64 v184, v[34:35], v[38:39] offset0:24 offset1:30
	;; [unrolled: 1-line block ×4, first 2 shown]
	ds_write_b64 v184, v[24:25] offset:480
	s_and_saveexec_b64 s[8:9], s[0:1]
	s_cbranch_execz .LBB0_9
; %bb.8:
	v_mul_f32_e32 v20, v19, v177
	v_mul_f32_e32 v21, v13, v100
	;; [unrolled: 1-line block ×3, first 2 shown]
	v_fma_f32 v20, v18, v178, -v20
	v_fma_f32 v21, v12, v101, -v21
	v_fmac_f32_e32 v13, v12, v100
	v_mul_f32_e32 v12, v19, v178
	v_mul_f32_e32 v19, v17, v54
	;; [unrolled: 1-line block ×3, first 2 shown]
	v_add_f32_e32 v22, v20, v21
	v_fma_f32 v19, v16, v55, -v19
	v_fma_f32 v25, v14, v103, -v25
	v_mul_f32_e32 v15, v15, v103
	v_mul_f32_e32 v23, 0xbf75a155, v22
	v_fmac_f32_e32 v12, v18, v177
	v_add_f32_e32 v26, v19, v25
	v_fmac_f32_e32 v15, v14, v102
	v_mul_f32_e32 v14, v17, v55
	v_sub_f32_e32 v24, v13, v12
	v_mov_b32_e32 v18, v23
	v_mul_f32_e32 v27, 0x3f575c64, v26
	v_fmac_f32_e32 v14, v16, v54
	v_fmac_f32_e32 v18, 0x3e903f40, v24
	v_sub_f32_e32 v28, v15, v14
	v_mov_b32_e32 v16, v27
	v_add_f32_e32 v18, v91, v18
	v_fmac_f32_e32 v16, 0xbf0a6770, v28
	v_add_f32_e32 v16, v16, v18
	v_mul_f32_e32 v17, v7, v52
	v_mul_f32_e32 v18, v9, v96
	v_fma_f32 v17, v6, v53, -v17
	v_fma_f32 v18, v8, v97, -v18
	v_add_f32_e32 v29, v17, v18
	v_mul_f32_e32 v31, v9, v97
	v_mul_f32_e32 v32, v7, v53
	;; [unrolled: 1-line block ×3, first 2 shown]
	v_fmac_f32_e32 v31, v8, v96
	v_fmac_f32_e32 v32, v6, v52
	v_sub_f32_e32 v33, v31, v32
	v_mov_b32_e32 v6, v30
	v_fmac_f32_e32 v6, 0x3f4178ce, v33
	v_mul_f32_e32 v7, v5, v62
	v_add_f32_e32 v6, v6, v16
	v_fma_f32 v16, v4, v63, -v7
	v_mul_f32_e32 v7, v11, v98
	v_mul_f32_e32 v36, v11, v99
	v_fma_f32 v34, v10, v99, -v7
	v_fmac_f32_e32 v36, v10, v98
	v_mul_f32_e32 v10, v5, v63
	v_mul_f32_e32 v5, v3, v94
	v_fma_f32 v11, v2, v95, -v5
	v_mul_f32_e32 v5, v1, v92
	v_add_f32_e32 v8, v16, v34
	v_fma_f32 v38, v0, v93, -v5
	v_mul_f32_e32 v35, 0x3ed4b147, v8
	v_fmac_f32_e32 v10, v4, v62
	v_add_f32_e32 v9, v11, v38
	v_mul_f32_e32 v52, v1, v93
	v_mul_f32_e32 v53, v3, v95
	v_sub_f32_e32 v37, v36, v10
	v_mov_b32_e32 v4, v35
	v_mul_f32_e32 v39, 0xbe11bafb, v9
	v_fmac_f32_e32 v52, v0, v92
	v_fmac_f32_e32 v53, v2, v94
	;; [unrolled: 1-line block ×3, first 2 shown]
	v_sub_f32_e32 v54, v52, v53
	v_mov_b32_e32 v0, v39
	v_sub_f32_e32 v62, v21, v20
	v_add_f32_e32 v4, v4, v6
	v_fmac_f32_e32 v0, 0x3f7d64f0, v54
	v_mul_f32_e32 v63, 0xbe903f40, v62
	v_sub_f32_e32 v89, v25, v19
	v_add_f32_e32 v1, v0, v4
	v_add_f32_e32 v55, v12, v13
	v_mov_b32_e32 v0, v63
	v_mul_f32_e32 v92, 0x3f0a6770, v89
	v_fmac_f32_e32 v0, 0xbf75a155, v55
	v_add_f32_e32 v88, v14, v15
	v_mov_b32_e32 v2, v92
	v_sub_f32_e32 v94, v18, v17
	v_add_f32_e32 v0, v90, v0
	v_fmac_f32_e32 v2, 0x3f575c64, v88
	v_mul_f32_e32 v95, 0xbf4178ce, v94
	v_add_f32_e32 v0, v2, v0
	v_add_f32_e32 v93, v32, v31
	v_mov_b32_e32 v2, v95
	v_sub_f32_e32 v97, v34, v16
	v_fmac_f32_e32 v2, 0xbf27a4f4, v93
	v_mul_f32_e32 v98, 0x3f68dda4, v97
	v_add_f32_e32 v0, v2, v0
	v_add_f32_e32 v96, v10, v36
	v_mov_b32_e32 v2, v98
	v_sub_f32_e32 v100, v38, v11
	v_fmac_f32_e32 v2, 0x3ed4b147, v96
	v_mul_f32_e32 v101, 0xbf7d64f0, v100
	v_add_f32_e32 v0, v2, v0
	v_add_f32_e32 v99, v53, v52
	v_mov_b32_e32 v2, v101
	v_fmac_f32_e32 v2, 0xbe11bafb, v99
	v_mul_f32_e32 v102, 0xbf27a4f4, v22
	v_add_f32_e32 v0, v2, v0
	v_mov_b32_e32 v2, v102
	v_mul_f32_e32 v103, 0xbe11bafb, v26
	v_fmac_f32_e32 v2, 0x3f4178ce, v24
	v_mov_b32_e32 v3, v103
	v_add_f32_e32 v2, v91, v2
	v_fmac_f32_e32 v3, 0xbf7d64f0, v28
	v_mul_f32_e32 v104, 0x3f575c64, v29
	v_add_f32_e32 v2, v3, v2
	v_mov_b32_e32 v3, v104
	v_fmac_f32_e32 v3, 0x3f0a6770, v33
	v_mul_f32_e32 v105, 0xbf75a155, v8
	v_add_f32_e32 v2, v3, v2
	v_mov_b32_e32 v3, v105
	;; [unrolled: 4-line block ×4, first 2 shown]
	v_mul_f32_e32 v108, 0x3f7d64f0, v89
	v_fmac_f32_e32 v2, 0xbf27a4f4, v55
	v_mov_b32_e32 v4, v108
	v_add_f32_e32 v2, v90, v2
	v_fmac_f32_e32 v4, 0xbe11bafb, v88
	v_mul_f32_e32 v109, 0xbf0a6770, v94
	v_add_f32_e32 v2, v4, v2
	v_mov_b32_e32 v4, v109
	v_fmac_f32_e32 v4, 0x3f575c64, v93
	v_mul_f32_e32 v110, 0xbe903f40, v97
	v_add_f32_e32 v2, v4, v2
	v_mov_b32_e32 v4, v110
	;; [unrolled: 4-line block ×4, first 2 shown]
	v_mul_f32_e32 v113, 0xbf75a155, v26
	v_fmac_f32_e32 v4, 0x3f7d64f0, v24
	v_mov_b32_e32 v5, v113
	v_add_f32_e32 v4, v91, v4
	v_fmac_f32_e32 v5, 0xbe903f40, v28
	v_mul_f32_e32 v114, 0x3ed4b147, v29
	v_add_f32_e32 v4, v5, v4
	v_mov_b32_e32 v5, v114
	v_add_f32_e32 v13, v90, v13
	v_fmac_f32_e32 v5, 0xbf68dda4, v33
	v_mul_f32_e32 v115, 0x3f575c64, v8
	v_add_f32_e32 v13, v15, v13
	v_add_f32_e32 v4, v5, v4
	v_mov_b32_e32 v5, v115
	v_add_f32_e32 v13, v31, v13
	v_fmac_f32_e32 v5, 0x3f0a6770, v37
	v_mul_f32_e32 v116, 0xbf27a4f4, v9
	v_add_f32_e32 v13, v36, v13
	;; [unrolled: 6-line block ×3, first 2 shown]
	v_add_f32_e32 v5, v5, v4
	v_mov_b32_e32 v4, v117
	v_mul_f32_e32 v118, 0x3e903f40, v89
	v_add_f32_e32 v10, v10, v13
	v_fmac_f32_e32 v4, 0xbe11bafb, v55
	v_mov_b32_e32 v6, v118
	v_add_f32_e32 v10, v32, v10
	v_add_f32_e32 v4, v90, v4
	v_fmac_f32_e32 v6, 0xbf75a155, v88
	v_mul_f32_e32 v119, 0x3f68dda4, v94
	v_add_f32_e32 v10, v14, v10
	v_fmac_f32_e32 v23, 0xbe903f40, v24
	v_add_f32_e32 v4, v6, v4
	v_mov_b32_e32 v6, v119
	v_add_f32_e32 v10, v12, v10
	v_add_f32_e32 v12, v91, v23
	v_fmac_f32_e32 v27, 0x3f0a6770, v28
	v_fmac_f32_e32 v6, 0x3ed4b147, v93
	v_mul_f32_e32 v120, 0xbf0a6770, v97
	v_add_f32_e32 v12, v27, v12
	v_fmac_f32_e32 v30, 0xbf4178ce, v33
	v_add_f32_e32 v4, v6, v4
	v_mov_b32_e32 v6, v120
	v_add_f32_e32 v12, v30, v12
	v_fmac_f32_e32 v35, 0x3f68dda4, v37
	v_fmac_f32_e32 v6, 0x3f575c64, v96
	v_mul_f32_e32 v121, 0xbf4178ce, v100
	v_add_f32_e32 v12, v35, v12
	v_fmac_f32_e32 v39, 0xbf7d64f0, v54
	v_add_f32_e32 v4, v6, v4
	v_mov_b32_e32 v6, v121
	v_add_f32_e32 v13, v39, v12
	v_fma_f32 v12, v55, s14, -v63
	v_fmac_f32_e32 v6, 0xbf27a4f4, v99
	v_mul_f32_e32 v122, 0x3ed4b147, v22
	v_add_f32_e32 v12, v90, v12
	v_fma_f32 v14, v88, s10, -v92
	v_add_f32_e32 v4, v6, v4
	v_mov_b32_e32 v6, v122
	v_mul_f32_e32 v123, 0xbf27a4f4, v26
	v_add_f32_e32 v12, v14, v12
	v_fma_f32 v14, v93, s13, -v95
	v_fmac_f32_e32 v6, 0x3f68dda4, v24
	v_mov_b32_e32 v7, v123
	v_add_f32_e32 v12, v14, v12
	v_fma_f32 v14, v96, s11, -v98
	v_add_f32_e32 v6, v91, v6
	v_fmac_f32_e32 v7, 0x3f4178ce, v28
	v_mul_f32_e32 v177, 0xbf75a155, v29
	v_add_f32_e32 v21, v21, v91
	v_add_f32_e32 v12, v14, v12
	v_fma_f32 v14, v99, s12, -v101
	v_fmac_f32_e32 v102, 0xbf4178ce, v24
	v_add_f32_e32 v6, v7, v6
	v_mov_b32_e32 v7, v177
	v_add_f32_e32 v21, v25, v21
	v_add_f32_e32 v12, v14, v12
	;; [unrolled: 1-line block ×3, first 2 shown]
	v_fmac_f32_e32 v103, 0x3f7d64f0, v28
	v_fmac_f32_e32 v7, 0xbe903f40, v33
	v_mul_f32_e32 v178, 0xbe11bafb, v8
	v_add_f32_e32 v18, v18, v21
	v_add_f32_e32 v14, v103, v14
	v_fmac_f32_e32 v104, 0xbf0a6770, v33
	v_add_f32_e32 v6, v7, v6
	v_mov_b32_e32 v7, v178
	v_add_f32_e32 v18, v34, v18
	v_add_f32_e32 v14, v104, v14
	v_fmac_f32_e32 v105, 0xbe903f40, v37
	v_fmac_f32_e32 v7, 0xbf7d64f0, v37
	v_mul_f32_e32 v184, 0x3f575c64, v9
	v_add_f32_e32 v18, v38, v18
	v_add_f32_e32 v14, v105, v14
	v_fmac_f32_e32 v106, 0x3f68dda4, v54
	v_add_f32_e32 v6, v7, v6
	v_mov_b32_e32 v7, v184
	v_add_f32_e32 v11, v11, v18
	v_add_f32_e32 v15, v106, v14
	v_fma_f32 v14, v55, s13, -v107
	v_fmac_f32_e32 v7, 0xbf0a6770, v54
	v_mul_f32_e32 v196, 0xbf68dda4, v62
	v_add_f32_e32 v11, v16, v11
	v_add_f32_e32 v14, v90, v14
	v_fma_f32 v16, v88, s12, -v108
	v_add_f32_e32 v7, v7, v6
	v_mov_b32_e32 v6, v196
	v_mul_f32_e32 v197, 0xbf4178ce, v89
	v_add_f32_e32 v14, v16, v14
	v_fma_f32 v16, v93, s10, -v109
	v_fmac_f32_e32 v6, 0x3ed4b147, v55
	v_mov_b32_e32 v198, v197
	v_add_f32_e32 v14, v16, v14
	v_fma_f32 v16, v96, s14, -v110
	v_add_f32_e32 v6, v90, v6
	v_fmac_f32_e32 v198, 0xbf27a4f4, v88
	v_add_f32_e32 v14, v16, v14
	v_fma_f32 v16, v99, s11, -v111
	v_fmac_f32_e32 v112, 0xbf7d64f0, v24
	v_add_f32_e32 v6, v198, v6
	v_mul_f32_e32 v198, 0x3e903f40, v94
	v_add_f32_e32 v14, v16, v14
	v_add_f32_e32 v16, v91, v112
	v_fmac_f32_e32 v113, 0x3e903f40, v28
	v_mov_b32_e32 v199, v198
	v_add_f32_e32 v16, v113, v16
	v_fmac_f32_e32 v114, 0x3f68dda4, v33
	v_fmac_f32_e32 v199, 0xbf75a155, v93
	v_add_f32_e32 v16, v114, v16
	v_fmac_f32_e32 v115, 0xbf0a6770, v37
	v_add_f32_e32 v6, v199, v6
	v_mul_f32_e32 v199, 0x3f7d64f0, v97
	v_add_f32_e32 v16, v115, v16
	v_fmac_f32_e32 v116, 0xbf4178ce, v54
	v_mov_b32_e32 v200, v199
	v_add_f32_e32 v11, v17, v11
	v_add_f32_e32 v17, v116, v16
	v_fma_f32 v16, v55, s12, -v117
	v_fmac_f32_e32 v200, 0xbe11bafb, v96
	v_add_f32_e32 v16, v90, v16
	v_fma_f32 v18, v88, s14, -v118
	v_add_f32_e32 v6, v200, v6
	v_mul_f32_e32 v200, 0x3f0a6770, v100
	v_add_f32_e32 v16, v18, v16
	v_fma_f32 v18, v93, s11, -v119
	v_mov_b32_e32 v201, v200
	v_add_f32_e32 v16, v18, v16
	v_fma_f32 v18, v96, s10, -v120
	v_fmac_f32_e32 v201, 0x3f575c64, v99
	v_mul_f32_e32 v22, 0x3f575c64, v22
	v_add_f32_e32 v16, v18, v16
	v_fma_f32 v18, v99, s13, -v121
	v_fmac_f32_e32 v122, 0xbf68dda4, v24
	v_add_f32_e32 v6, v201, v6
	v_mov_b32_e32 v201, v22
	v_mul_f32_e32 v26, 0x3ed4b147, v26
	v_add_f32_e32 v16, v18, v16
	v_add_f32_e32 v18, v91, v122
	v_fmac_f32_e32 v123, 0xbf4178ce, v28
	v_fmac_f32_e32 v201, 0x3f0a6770, v24
	v_mov_b32_e32 v202, v26
	v_add_f32_e32 v18, v123, v18
	v_fmac_f32_e32 v177, 0x3e903f40, v33
	v_add_f32_e32 v201, v91, v201
	v_fmac_f32_e32 v202, 0x3f68dda4, v28
	v_mul_f32_e32 v29, 0xbe11bafb, v29
	v_add_f32_e32 v18, v177, v18
	v_fmac_f32_e32 v178, 0x3f7d64f0, v37
	v_add_f32_e32 v201, v202, v201
	v_mov_b32_e32 v202, v29
	v_add_f32_e32 v18, v178, v18
	v_fmac_f32_e32 v184, 0x3f0a6770, v54
	v_fmac_f32_e32 v202, 0x3f7d64f0, v33
	v_add_f32_e32 v11, v19, v11
	v_add_f32_e32 v19, v184, v18
	v_fma_f32 v18, v55, s11, -v196
	v_add_f32_e32 v201, v202, v201
	v_mul_f32_e32 v202, 0xbf27a4f4, v8
	v_add_f32_e32 v11, v20, v11
	v_add_f32_e32 v18, v90, v18
	v_fma_f32 v20, v88, s13, -v197
	v_mov_b32_e32 v8, v202
	v_add_f32_e32 v18, v20, v18
	v_fma_f32 v20, v93, s14, -v198
	v_fmac_f32_e32 v8, 0x3f4178ce, v37
	v_add_f32_e32 v18, v20, v18
	v_fma_f32 v20, v96, s12, -v199
	v_add_f32_e32 v8, v8, v201
	v_mul_f32_e32 v201, 0xbf75a155, v9
	v_add_f32_e32 v18, v20, v18
	v_fma_f32 v20, v99, s10, -v200
	v_fmac_f32_e32 v22, 0xbf0a6770, v24
	v_mov_b32_e32 v9, v201
	v_add_f32_e32 v18, v20, v18
	v_add_f32_e32 v20, v91, v22
	v_fmac_f32_e32 v26, 0xbf68dda4, v28
	v_fmac_f32_e32 v9, 0x3e903f40, v54
	v_mul_f32_e32 v62, 0xbf0a6770, v62
	v_add_f32_e32 v20, v26, v20
	v_fmac_f32_e32 v29, 0xbf7d64f0, v33
	v_add_f32_e32 v9, v9, v8
	v_mov_b32_e32 v8, v62
	v_mul_f32_e32 v89, 0xbf68dda4, v89
	v_add_f32_e32 v20, v29, v20
	v_fmac_f32_e32 v202, 0xbf4178ce, v37
	v_fmac_f32_e32 v8, 0x3f575c64, v55
	v_mov_b32_e32 v203, v89
	v_add_f32_e32 v20, v202, v20
	v_fmac_f32_e32 v201, 0xbe903f40, v54
	v_add_f32_e32 v8, v90, v8
	v_fmac_f32_e32 v203, 0x3ed4b147, v88
	v_mul_f32_e32 v94, 0xbf7d64f0, v94
	v_add_f32_e32 v21, v201, v20
	v_fma_f32 v20, v55, s10, -v62
	v_add_f32_e32 v8, v203, v8
	v_mov_b32_e32 v203, v94
	v_add_f32_e32 v20, v90, v20
	v_fma_f32 v22, v88, s11, -v89
	v_fmac_f32_e32 v203, 0xbe11bafb, v93
	v_mul_f32_e32 v97, 0xbf4178ce, v97
	v_add_f32_e32 v20, v22, v20
	v_fma_f32 v22, v93, s12, -v94
	v_add_f32_e32 v8, v203, v8
	v_mov_b32_e32 v203, v97
	v_mul_f32_e32 v100, 0xbe903f40, v100
	v_add_f32_e32 v20, v22, v20
	v_fma_f32 v22, v96, s13, -v97
	v_fmac_f32_e32 v203, 0xbf27a4f4, v96
	v_add_f32_e32 v20, v22, v20
	v_fma_f32 v22, v99, s14, -v100
	v_add_f32_e32 v8, v203, v8
	v_mov_b32_e32 v203, v100
	v_add_f32_e32 v20, v22, v20
	v_mul_u32_u24_e32 v22, 0x42, v182
	v_fmac_f32_e32 v203, 0xbf75a155, v99
	v_add_u32_sdwa v22, v22, v183 dst_sel:DWORD dst_unused:UNUSED_PAD src0_sel:DWORD src1_sel:BYTE_0
	v_add_f32_e32 v8, v203, v8
	v_lshl_add_u32 v22, v22, 3, v181
	ds_write2_b64 v22, v[10:11], v[8:9] offset1:6
	ds_write2_b64 v22, v[6:7], v[4:5] offset0:12 offset1:18
	ds_write2_b64 v22, v[2:3], v[0:1] offset0:24 offset1:30
	;; [unrolled: 1-line block ×4, first 2 shown]
	ds_write_b64 v22, v[20:21] offset:480
.LBB0_9:
	s_or_b64 exec, exec, s[8:9]
	v_add_u32_e32 v3, 0x1000, v180
	s_waitcnt lgkmcnt(0)
	s_barrier
	ds_read2_b64 v[6:9], v180 offset1:66
	ds_read2_b64 v[10:13], v3 offset0:16 offset1:82
	ds_read2_b64 v[14:17], v3 offset0:148 offset1:214
	ds_read2_b64 v[18:21], v180 offset0:132 offset1:198
	v_add_u32_e32 v5, 0x1800, v180
	ds_read2_b64 v[22:25], v5 offset0:24 offset1:90
	s_waitcnt lgkmcnt(3)
	v_mul_f32_e32 v38, v164, v13
	v_add_u32_e32 v4, 0x800, v180
	v_fmac_f32_e32 v38, v163, v12
	v_mul_f32_e32 v12, v164, v12
	ds_read2_b64 v[26:29], v4 offset0:8 offset1:74
	ds_read2_b64 v[30:33], v5 offset0:156 offset1:222
	;; [unrolled: 1-line block ×3, first 2 shown]
	v_add_u32_e32 v2, 0x2000, v180
	v_fma_f32 v13, v163, v13, -v12
	s_waitcnt lgkmcnt(5)
	v_mul_f32_e32 v12, v164, v14
	ds_read2_b64 v[52:55], v2 offset0:32 offset1:98
	v_mul_f32_e32 v39, v164, v15
	v_fma_f32 v15, v163, v15, -v12
	v_mul_f32_e32 v12, v168, v16
	v_mul_f32_e32 v62, v168, v17
	v_fma_f32 v17, v167, v17, -v12
	s_waitcnt lgkmcnt(4)
	v_mul_f32_e32 v12, v166, v22
	v_mul_f32_e32 v63, v166, v23
	v_fma_f32 v23, v165, v23, -v12
	v_mul_f32_e32 v12, v162, v24
	v_mul_f32_e32 v88, v162, v25
	v_fma_f32 v25, v161, v25, -v12
	s_waitcnt lgkmcnt(2)
	v_mul_f32_e32 v12, v172, v30
	;; [unrolled: 7-line block ×3, first 2 shown]
	v_mul_f32_e32 v12, v176, v52
	v_fmac_f32_e32 v91, v175, v52
	v_fma_f32 v52, v175, v53, -v12
	v_mul_f32_e32 v53, v174, v55
	v_mul_f32_e32 v12, v174, v54
	v_fmac_f32_e32 v39, v163, v14
	v_fmac_f32_e32 v62, v167, v16
	;; [unrolled: 1-line block ×3, first 2 shown]
	v_fma_f32 v54, v173, v55, -v12
	v_sub_f32_e32 v12, v6, v38
	v_sub_f32_e32 v13, v7, v13
	v_fmac_f32_e32 v63, v165, v22
	v_fma_f32 v6, v6, 2.0, -v12
	v_fma_f32 v7, v7, 2.0, -v13
	v_sub_f32_e32 v14, v8, v39
	v_sub_f32_e32 v15, v9, v15
	;; [unrolled: 1-line block ×4, first 2 shown]
	v_fmac_f32_e32 v88, v161, v24
	v_fma_f32 v8, v8, 2.0, -v14
	v_fma_f32 v9, v9, 2.0, -v15
	;; [unrolled: 1-line block ×4, first 2 shown]
	v_sub_f32_e32 v22, v20, v63
	v_sub_f32_e32 v23, v21, v23
	s_barrier
	ds_write2_b64 v180, v[6:7], v[12:13] offset1:66
	ds_write2_b64 v180, v[8:9], v[14:15] offset0:132 offset1:198
	v_add_u32_e32 v6, 0x800, v185
	v_fmac_f32_e32 v89, v171, v30
	v_fma_f32 v20, v20, 2.0, -v22
	v_fma_f32 v21, v21, 2.0, -v23
	v_sub_f32_e32 v24, v26, v88
	v_sub_f32_e32 v25, v27, v25
	ds_write2_b64 v6, v[18:19], v[16:17] offset0:8 offset1:74
	v_add_u32_e32 v6, 0x800, v186
	v_fmac_f32_e32 v90, v169, v32
	v_fma_f32 v26, v26, 2.0, -v24
	v_fma_f32 v27, v27, 2.0, -v25
	v_sub_f32_e32 v30, v28, v89
	v_sub_f32_e32 v31, v29, v31
	ds_write2_b64 v6, v[20:21], v[22:23] offset0:140 offset1:206
	v_add_u32_e32 v6, 0x1000, v187
	v_fma_f32 v28, v28, 2.0, -v30
	v_fma_f32 v29, v29, 2.0, -v31
	v_sub_f32_e32 v32, v34, v90
	v_sub_f32_e32 v33, v35, v33
	ds_write2_b64 v6, v[26:27], v[24:25] offset0:16 offset1:82
	v_add_u32_e32 v6, 0x1000, v188
	;; [unrolled: 6-line block ×4, first 2 shown]
	v_fma_f32 v10, v10, 2.0, -v52
	v_fma_f32 v11, v11, 2.0, -v53
	ds_write2_b64 v6, v[36:37], v[38:39] offset0:156 offset1:222
	v_add_u32_e32 v6, 0x2000, v191
	ds_write2_b64 v6, v[10:11], v[52:53] offset0:32 offset1:98
	s_waitcnt lgkmcnt(0)
	s_barrier
	ds_read2_b64 v[6:9], v180 offset1:66
	ds_read2_b64 v[10:13], v4 offset0:140 offset1:206
	ds_read2_b64 v[14:17], v5 offset0:24 offset1:90
	ds_read2_b64 v[18:21], v180 offset0:132 offset1:198
	ds_read2_b64 v[22:25], v3 offset0:16 offset1:82
	ds_read2_b64 v[26:29], v5 offset0:156 offset1:222
	ds_read2_b64 v[30:33], v4 offset0:8 offset1:74
	ds_read2_b64 v[34:37], v3 offset0:148 offset1:214
	ds_read2_b64 v[52:55], v2 offset0:32 offset1:98
	s_waitcnt lgkmcnt(7)
	v_mul_f32_e32 v38, v41, v11
	v_fmac_f32_e32 v38, v40, v10
	v_mul_f32_e32 v10, v41, v10
	v_fma_f32 v39, v40, v11, -v10
	s_waitcnt lgkmcnt(6)
	v_mul_f32_e32 v62, v43, v15
	v_mul_f32_e32 v10, v43, v14
	v_fmac_f32_e32 v62, v42, v14
	v_fma_f32 v14, v42, v15, -v10
	v_mul_f32_e32 v10, v45, v12
	v_fma_f32 v88, v44, v13, -v10
	v_mul_f32_e32 v10, v47, v16
	v_mul_f32_e32 v89, v47, v17
	v_fma_f32 v17, v46, v17, -v10
	s_waitcnt lgkmcnt(4)
	v_mul_f32_e32 v90, v41, v23
	v_mul_f32_e32 v10, v41, v22
	v_fmac_f32_e32 v90, v40, v22
	v_fma_f32 v40, v40, v23, -v10
	s_waitcnt lgkmcnt(3)
	v_mul_f32_e32 v41, v43, v27
	v_mul_f32_e32 v10, v43, v26
	v_fmac_f32_e32 v41, v42, v26
	v_fma_f32 v26, v42, v27, -v10
	v_mul_f32_e32 v10, v45, v24
	v_mul_f32_e32 v63, v45, v13
	v_mul_f32_e32 v42, v45, v25
	v_fma_f32 v43, v44, v25, -v10
	v_mul_f32_e32 v10, v47, v28
	v_fmac_f32_e32 v63, v44, v12
	v_fmac_f32_e32 v42, v44, v24
	v_mul_f32_e32 v44, v47, v29
	v_fma_f32 v29, v46, v29, -v10
	s_waitcnt lgkmcnt(1)
	v_mul_f32_e32 v10, v49, v34
	v_fmac_f32_e32 v89, v46, v16
	v_fmac_f32_e32 v44, v46, v28
	v_mul_f32_e32 v45, v49, v35
	v_fma_f32 v46, v48, v35, -v10
	s_waitcnt lgkmcnt(0)
	v_mul_f32_e32 v10, v51, v52
	v_fmac_f32_e32 v45, v48, v34
	v_mul_f32_e32 v47, v51, v53
	v_fma_f32 v48, v50, v53, -v10
	v_mul_f32_e32 v10, v57, v36
	v_fmac_f32_e32 v47, v50, v52
	v_fma_f32 v50, v56, v37, -v10
	v_mul_f32_e32 v10, v59, v54
	v_add_f32_e32 v11, v38, v62
	v_fma_f32 v52, v58, v55, -v10
	v_add_f32_e32 v10, v6, v38
	v_fma_f32 v6, -0.5, v11, v6
	v_sub_f32_e32 v11, v39, v14
	v_mov_b32_e32 v12, v6
	v_add_f32_e32 v13, v39, v14
	v_fmac_f32_e32 v12, 0xbf5db3d7, v11
	v_fmac_f32_e32 v6, 0x3f5db3d7, v11
	v_add_f32_e32 v11, v7, v39
	v_fma_f32 v7, -0.5, v13, v7
	v_add_f32_e32 v11, v11, v14
	v_sub_f32_e32 v14, v38, v62
	v_mov_b32_e32 v13, v7
	v_add_f32_e32 v15, v63, v89
	v_fmac_f32_e32 v13, 0x3f5db3d7, v14
	v_fmac_f32_e32 v7, 0xbf5db3d7, v14
	v_add_f32_e32 v14, v8, v63
	v_fma_f32 v8, -0.5, v15, v8
	v_sub_f32_e32 v15, v88, v17
	v_mov_b32_e32 v16, v8
	v_fmac_f32_e32 v16, 0xbf5db3d7, v15
	v_fmac_f32_e32 v8, 0x3f5db3d7, v15
	v_add_f32_e32 v15, v9, v88
	v_add_f32_e32 v15, v15, v17
	;; [unrolled: 1-line block ×3, first 2 shown]
	v_fmac_f32_e32 v9, -0.5, v17
	v_sub_f32_e32 v22, v63, v89
	v_mov_b32_e32 v17, v9
	v_add_f32_e32 v23, v90, v41
	v_fmac_f32_e32 v17, 0x3f5db3d7, v22
	v_fmac_f32_e32 v9, 0xbf5db3d7, v22
	v_add_f32_e32 v22, v18, v90
	v_fma_f32 v18, -0.5, v23, v18
	v_sub_f32_e32 v23, v40, v26
	v_mov_b32_e32 v24, v18
	v_add_f32_e32 v25, v40, v26
	v_fmac_f32_e32 v24, 0xbf5db3d7, v23
	v_fmac_f32_e32 v18, 0x3f5db3d7, v23
	v_add_f32_e32 v23, v19, v40
	v_fma_f32 v19, -0.5, v25, v19
	v_add_f32_e32 v23, v23, v26
	v_sub_f32_e32 v26, v90, v41
	v_mov_b32_e32 v25, v19
	v_add_f32_e32 v27, v42, v44
	v_fmac_f32_e32 v25, 0x3f5db3d7, v26
	v_fmac_f32_e32 v19, 0xbf5db3d7, v26
	v_add_f32_e32 v26, v20, v42
	v_fma_f32 v20, -0.5, v27, v20
	v_sub_f32_e32 v27, v43, v29
	v_mov_b32_e32 v28, v20
	v_fmac_f32_e32 v28, 0xbf5db3d7, v27
	v_fmac_f32_e32 v20, 0x3f5db3d7, v27
	v_add_f32_e32 v27, v21, v43
	v_add_f32_e32 v27, v27, v29
	;; [unrolled: 1-line block ×3, first 2 shown]
	v_fmac_f32_e32 v21, -0.5, v29
	v_sub_f32_e32 v34, v42, v44
	v_mov_b32_e32 v29, v21
	v_add_f32_e32 v35, v45, v47
	v_mul_f32_e32 v49, v57, v37
	v_fmac_f32_e32 v29, 0x3f5db3d7, v34
	v_fmac_f32_e32 v21, 0xbf5db3d7, v34
	v_add_f32_e32 v34, v30, v45
	v_fma_f32 v30, -0.5, v35, v30
	v_fmac_f32_e32 v49, v56, v36
	v_mul_f32_e32 v51, v59, v55
	v_sub_f32_e32 v35, v46, v48
	v_mov_b32_e32 v36, v30
	v_add_f32_e32 v37, v46, v48
	v_fmac_f32_e32 v51, v58, v54
	v_fmac_f32_e32 v36, 0xbf5db3d7, v35
	;; [unrolled: 1-line block ×3, first 2 shown]
	v_add_f32_e32 v35, v31, v46
	v_fma_f32 v31, -0.5, v37, v31
	v_sub_f32_e32 v38, v45, v47
	v_mov_b32_e32 v37, v31
	v_add_f32_e32 v39, v49, v51
	v_fmac_f32_e32 v37, 0x3f5db3d7, v38
	v_fmac_f32_e32 v31, 0xbf5db3d7, v38
	v_add_f32_e32 v38, v32, v49
	v_fma_f32 v32, -0.5, v39, v32
	v_add_f32_e32 v22, v22, v41
	v_sub_f32_e32 v39, v50, v52
	v_mov_b32_e32 v40, v32
	v_add_f32_e32 v41, v50, v52
	v_add_f32_e32 v10, v10, v62
	v_add_f32_e32 v14, v14, v89
	v_fmac_f32_e32 v40, 0xbf5db3d7, v39
	v_fmac_f32_e32 v32, 0x3f5db3d7, v39
	v_add_f32_e32 v39, v33, v50
	v_fmac_f32_e32 v33, -0.5, v41
	v_add_f32_e32 v26, v26, v44
	v_add_f32_e32 v34, v34, v47
	;; [unrolled: 1-line block ×3, first 2 shown]
	v_sub_f32_e32 v42, v49, v51
	v_mov_b32_e32 v41, v33
	s_barrier
	ds_write2_b64 v180, v[10:11], v[14:15] offset1:66
	ds_write2_b64 v180, v[12:13], v[16:17] offset0:132 offset1:198
	ds_write2_b64 v4, v[6:7], v[8:9] offset0:8 offset1:74
	ds_write2_b64 v4, v[22:23], v[26:27] offset0:140 offset1:206
	ds_write2_b64 v3, v[24:25], v[28:29] offset0:16 offset1:82
	ds_write2_b64 v3, v[18:19], v[20:21] offset0:148 offset1:214
	v_add_u32_e32 v6, 0x1800, v192
	v_add_f32_e32 v38, v38, v51
	v_add_f32_e32 v39, v39, v52
	v_fmac_f32_e32 v41, 0x3f5db3d7, v42
	v_fmac_f32_e32 v33, 0xbf5db3d7, v42
	ds_write2_b64 v6, v[34:35], v[36:37] offset0:24 offset1:156
	ds_write_b64 v192, v[30:31] offset:8448
	v_add_u32_e32 v6, 0x1800, v193
	ds_write2_b64 v6, v[38:39], v[40:41] offset0:24 offset1:156
	ds_write_b64 v193, v[32:33] offset:8448
	s_waitcnt lgkmcnt(0)
	s_barrier
	ds_read2_b64 v[6:9], v180 offset1:66
	ds_read2_b64 v[10:13], v4 offset0:140 offset1:206
	ds_read2_b64 v[14:17], v5 offset0:24 offset1:90
	;; [unrolled: 1-line block ×8, first 2 shown]
	s_waitcnt lgkmcnt(7)
	v_mul_f32_e32 v42, v65, v11
	v_fmac_f32_e32 v42, v64, v10
	v_mul_f32_e32 v10, v65, v10
	v_fma_f32 v43, v64, v11, -v10
	s_waitcnt lgkmcnt(6)
	v_mul_f32_e32 v44, v67, v15
	v_mul_f32_e32 v10, v67, v14
	v_fmac_f32_e32 v44, v66, v14
	v_fma_f32 v14, v66, v15, -v10
	v_mul_f32_e32 v10, v69, v12
	v_fma_f32 v46, v68, v13, -v10
	v_mul_f32_e32 v10, v71, v16
	v_mul_f32_e32 v47, v71, v17
	v_fma_f32 v17, v70, v17, -v10
	s_waitcnt lgkmcnt(4)
	v_mul_f32_e32 v10, v73, v22
	v_fma_f32 v49, v72, v23, -v10
	s_waitcnt lgkmcnt(3)
	v_mul_f32_e32 v50, v75, v27
	v_mul_f32_e32 v10, v75, v26
	v_fmac_f32_e32 v50, v74, v26
	v_fma_f32 v26, v74, v27, -v10
	v_mul_f32_e32 v10, v77, v24
	v_fma_f32 v52, v76, v25, -v10
	v_mul_f32_e32 v10, v79, v28
	v_mul_f32_e32 v53, v79, v29
	v_fma_f32 v29, v78, v29, -v10
	s_waitcnt lgkmcnt(1)
	v_mul_f32_e32 v10, v81, v34
	v_fma_f32 v55, v80, v35, -v10
	s_waitcnt lgkmcnt(0)
	v_mul_f32_e32 v56, v83, v39
	v_mul_f32_e32 v10, v83, v38
	v_fmac_f32_e32 v56, v82, v38
	v_fma_f32 v38, v82, v39, -v10
	v_mul_f32_e32 v10, v85, v36
	v_fma_f32 v58, v84, v37, -v10
	v_mul_f32_e32 v10, v87, v40
	v_add_f32_e32 v11, v42, v44
	v_mul_f32_e32 v45, v69, v13
	v_mul_f32_e32 v59, v87, v41
	v_fma_f32 v41, v86, v41, -v10
	v_add_f32_e32 v10, v6, v42
	v_fma_f32 v6, -0.5, v11, v6
	v_fmac_f32_e32 v45, v68, v12
	v_sub_f32_e32 v11, v43, v14
	v_mov_b32_e32 v12, v6
	v_add_f32_e32 v13, v43, v14
	v_fmac_f32_e32 v47, v70, v16
	v_fmac_f32_e32 v12, 0xbf5db3d7, v11
	;; [unrolled: 1-line block ×3, first 2 shown]
	v_add_f32_e32 v11, v7, v43
	v_fma_f32 v7, -0.5, v13, v7
	v_add_f32_e32 v11, v11, v14
	v_sub_f32_e32 v14, v42, v44
	v_mov_b32_e32 v13, v7
	v_add_f32_e32 v15, v45, v47
	v_fmac_f32_e32 v13, 0x3f5db3d7, v14
	v_fmac_f32_e32 v7, 0xbf5db3d7, v14
	v_add_f32_e32 v14, v8, v45
	v_fma_f32 v8, -0.5, v15, v8
	v_sub_f32_e32 v15, v46, v17
	v_mov_b32_e32 v16, v8
	v_fmac_f32_e32 v16, 0xbf5db3d7, v15
	v_fmac_f32_e32 v8, 0x3f5db3d7, v15
	v_add_f32_e32 v15, v9, v46
	v_mul_f32_e32 v48, v73, v23
	v_add_f32_e32 v15, v15, v17
	v_add_f32_e32 v17, v46, v17
	v_fmac_f32_e32 v48, v72, v22
	v_fmac_f32_e32 v9, -0.5, v17
	v_sub_f32_e32 v22, v45, v47
	v_mov_b32_e32 v17, v9
	v_add_f32_e32 v23, v48, v50
	v_mul_f32_e32 v51, v77, v25
	v_fmac_f32_e32 v17, 0x3f5db3d7, v22
	v_fmac_f32_e32 v9, 0xbf5db3d7, v22
	v_add_f32_e32 v22, v18, v48
	v_fma_f32 v18, -0.5, v23, v18
	v_fmac_f32_e32 v51, v76, v24
	v_sub_f32_e32 v23, v49, v26
	v_mov_b32_e32 v24, v18
	v_add_f32_e32 v25, v49, v26
	v_fmac_f32_e32 v53, v78, v28
	v_fmac_f32_e32 v24, 0xbf5db3d7, v23
	;; [unrolled: 1-line block ×3, first 2 shown]
	v_add_f32_e32 v23, v19, v49
	v_fma_f32 v19, -0.5, v25, v19
	v_add_f32_e32 v23, v23, v26
	v_sub_f32_e32 v26, v48, v50
	v_mov_b32_e32 v25, v19
	v_add_f32_e32 v27, v51, v53
	v_fmac_f32_e32 v25, 0x3f5db3d7, v26
	v_fmac_f32_e32 v19, 0xbf5db3d7, v26
	v_add_f32_e32 v26, v20, v51
	v_fma_f32 v20, -0.5, v27, v20
	v_sub_f32_e32 v27, v52, v29
	v_mov_b32_e32 v28, v20
	v_fmac_f32_e32 v28, 0xbf5db3d7, v27
	v_fmac_f32_e32 v20, 0x3f5db3d7, v27
	v_add_f32_e32 v27, v21, v52
	v_mul_f32_e32 v54, v81, v35
	v_add_f32_e32 v27, v27, v29
	v_add_f32_e32 v29, v52, v29
	v_fmac_f32_e32 v54, v80, v34
	v_fmac_f32_e32 v21, -0.5, v29
	v_sub_f32_e32 v34, v51, v53
	v_mov_b32_e32 v29, v21
	v_add_f32_e32 v35, v54, v56
	v_mul_f32_e32 v57, v85, v37
	v_fmac_f32_e32 v29, 0x3f5db3d7, v34
	v_fmac_f32_e32 v21, 0xbf5db3d7, v34
	v_add_f32_e32 v34, v30, v54
	v_fma_f32 v30, -0.5, v35, v30
	v_fmac_f32_e32 v57, v84, v36
	v_sub_f32_e32 v35, v55, v38
	v_mov_b32_e32 v36, v30
	v_add_f32_e32 v37, v55, v38
	v_fmac_f32_e32 v59, v86, v40
	v_fmac_f32_e32 v36, 0xbf5db3d7, v35
	;; [unrolled: 1-line block ×3, first 2 shown]
	v_add_f32_e32 v35, v31, v55
	v_fma_f32 v31, -0.5, v37, v31
	v_add_f32_e32 v35, v35, v38
	v_sub_f32_e32 v38, v54, v56
	v_mov_b32_e32 v37, v31
	v_add_f32_e32 v39, v57, v59
	v_fmac_f32_e32 v37, 0x3f5db3d7, v38
	v_fmac_f32_e32 v31, 0xbf5db3d7, v38
	v_add_f32_e32 v38, v32, v57
	v_fma_f32 v32, -0.5, v39, v32
	v_sub_f32_e32 v39, v58, v41
	v_mov_b32_e32 v40, v32
	v_fmac_f32_e32 v40, 0xbf5db3d7, v39
	v_fmac_f32_e32 v32, 0x3f5db3d7, v39
	v_add_f32_e32 v39, v33, v58
	v_add_f32_e32 v39, v39, v41
	;; [unrolled: 1-line block ×3, first 2 shown]
	v_fmac_f32_e32 v33, -0.5, v41
	v_add_f32_e32 v10, v10, v44
	v_add_f32_e32 v14, v14, v47
	v_sub_f32_e32 v42, v57, v59
	v_mov_b32_e32 v41, v33
	v_add_f32_e32 v22, v22, v50
	v_add_f32_e32 v26, v26, v53
	;; [unrolled: 1-line block ×4, first 2 shown]
	v_fmac_f32_e32 v41, 0x3f5db3d7, v42
	v_fmac_f32_e32 v33, 0xbf5db3d7, v42
	ds_write2_b64 v180, v[10:11], v[14:15] offset1:66
	ds_write2_b64 v4, v[12:13], v[16:17] offset0:140 offset1:206
	ds_write2_b64 v5, v[6:7], v[8:9] offset0:24 offset1:90
	ds_write_b64 v195, v[24:25] offset:3168
	ds_write_b64 v195, v[18:19] offset:6336
	ds_write2_b64 v180, v[22:23], v[26:27] offset0:132 offset1:198
	ds_write_b64 v194, v[28:29] offset:3168
	ds_write_b64 v194, v[20:21] offset:6336
	;; [unrolled: 1-line block ×4, first 2 shown]
	ds_write2_b64 v4, v[34:35], v[38:39] offset0:8 offset1:74
	ds_write_b64 v60, v[40:41] offset:3168
	ds_write_b64 v60, v[32:33] offset:6336
	s_waitcnt lgkmcnt(0)
	s_barrier
	ds_read2_b64 v[6:9], v180 offset1:66
	v_mad_u64_u32 v[0:1], s[0:1], s6, v140, 0
	v_mov_b32_e32 v18, s3
	s_mul_hi_u32 s3, s4, 0x630
	v_mad_u64_u32 v[10:11], s[0:1], s7, v140, v[1:2]
	s_waitcnt lgkmcnt(0)
	v_mul_f32_e32 v1, v148, v7
	v_fmac_f32_e32 v1, v147, v6
	v_cvt_f64_f32_e32 v[11:12], v1
	s_mov_b32 s0, 0x2b18ff23
	s_mov_b32 s1, 0x3f4b951e
	v_mul_f32_e32 v1, v148, v6
	v_mul_f64 v[11:12], v[11:12], s[0:1]
	v_fma_f32 v1, v147, v7, -v1
	v_cvt_f64_f32_e32 v[6:7], v1
	v_mad_u64_u32 v[14:15], s[6:7], s4, v179, 0
	v_mov_b32_e32 v1, v10
	v_mul_f64 v[6:7], v[6:7], s[0:1]
	v_mov_b32_e32 v10, v15
	v_mad_u64_u32 v[15:16], s[6:7], s5, v179, v[10:11]
	v_cvt_f32_f64_e32 v16, v[11:12]
	ds_read2_b64 v[10:13], v180 offset0:132 offset1:198
	v_lshlrev_b64 v[0:1], 3, v[0:1]
	v_cvt_f32_f64_e32 v17, v[6:7]
	v_add_co_u32_e32 v20, vcc, s2, v0
	s_waitcnt lgkmcnt(0)
	v_mul_f32_e32 v6, v144, v13
	v_fmac_f32_e32 v6, v143, v12
	v_mul_f32_e32 v12, v144, v12
	v_fma_f32 v12, v143, v13, -v12
	v_cvt_f64_f32_e32 v[6:7], v6
	v_cvt_f64_f32_e32 v[12:13], v12
	v_addc_co_u32_e32 v21, vcc, v18, v1, vcc
	v_mul_f64 v[0:1], v[6:7], s[0:1]
	v_lshlrev_b64 v[6:7], 3, v[14:15]
	v_mul_f64 v[18:19], v[12:13], s[0:1]
	ds_read2_b64 v[12:15], v4 offset0:140 offset1:206
	v_add_co_u32_e32 v6, vcc, v20, v6
	v_addc_co_u32_e32 v7, vcc, v21, v7, vcc
	global_store_dwordx2 v[6:7], v[16:17], off
	s_waitcnt lgkmcnt(0)
	v_mul_f32_e32 v16, v152, v13
	v_fmac_f32_e32 v16, v151, v12
	v_cvt_f64_f32_e32 v[16:17], v16
	v_mul_f32_e32 v12, v152, v12
	v_fma_f32 v12, v151, v13, -v12
	v_cvt_f64_f32_e32 v[12:13], v12
	v_cvt_f32_f64_e32 v0, v[0:1]
	v_cvt_f32_f64_e32 v1, v[18:19]
	v_mul_f64 v[20:21], v[16:17], s[0:1]
	ds_read2_b64 v[16:19], v3 offset0:16 offset1:82
	s_mul_i32 s2, s5, 0x630
	s_add_i32 s2, s3, s2
	s_mul_i32 s3, s4, 0x630
	v_mov_b32_e32 v22, s2
	v_mul_f64 v[12:13], v[12:13], s[0:1]
	v_add_co_u32_e32 v6, vcc, s3, v6
	v_addc_co_u32_e32 v7, vcc, v7, v22, vcc
	global_store_dwordx2 v[6:7], v[0:1], off
	s_waitcnt lgkmcnt(0)
	v_mul_f32_e32 v0, v160, v19
	v_fmac_f32_e32 v0, v159, v18
	v_cvt_f64_f32_e32 v[0:1], v0
	v_cvt_f32_f64_e32 v23, v[12:13]
	v_mul_f32_e32 v12, v160, v18
	v_fma_f32 v12, v159, v19, -v12
	v_mul_f64 v[0:1], v[0:1], s[0:1]
	v_cvt_f64_f32_e32 v[12:13], v12
	v_cvt_f32_f64_e32 v22, v[20:21]
	ds_read2_b64 v[18:21], v5 offset0:24 offset1:90
	v_mov_b32_e32 v24, s2
	v_mul_f64 v[12:13], v[12:13], s[0:1]
	v_add_co_u32_e32 v6, vcc, s3, v6
	v_cvt_f32_f64_e32 v0, v[0:1]
	s_waitcnt lgkmcnt(0)
	v_mul_f32_e32 v1, v158, v19
	v_addc_co_u32_e32 v7, vcc, v7, v24, vcc
	v_fmac_f32_e32 v1, v157, v18
	global_store_dwordx2 v[6:7], v[22:23], off
	v_cvt_f64_f32_e32 v[22:23], v1
	v_mul_f32_e32 v1, v158, v18
	v_fma_f32 v1, v157, v19, -v1
	v_cvt_f64_f32_e32 v[18:19], v1
	v_cvt_f32_f64_e32 v1, v[12:13]
	v_mul_f64 v[12:13], v[22:23], s[0:1]
	ds_read2_b64 v[22:25], v5 offset0:156 offset1:222
	v_mov_b32_e32 v26, s2
	v_add_co_u32_e32 v5, vcc, s3, v6
	v_addc_co_u32_e32 v6, vcc, v7, v26, vcc
	global_store_dwordx2 v[5:6], v[0:1], off
	s_waitcnt lgkmcnt(0)
	v_mul_f32_e32 v0, v156, v25
	v_fmac_f32_e32 v0, v155, v24
	v_mul_f64 v[18:19], v[18:19], s[0:1]
	v_cvt_f64_f32_e32 v[0:1], v0
	v_cvt_f32_f64_e32 v12, v[12:13]
	v_mov_b32_e32 v7, s2
	v_add_co_u32_e32 v5, vcc, s3, v5
	v_mul_f64 v[0:1], v[0:1], s[0:1]
	v_addc_co_u32_e32 v6, vcc, v6, v7, vcc
	v_cvt_f32_f64_e32 v13, v[18:19]
	v_mul_f32_e32 v18, v156, v24
	v_fma_f32 v18, v155, v25, -v18
	v_cvt_f64_f32_e32 v[18:19], v18
	global_store_dwordx2 v[5:6], v[12:13], off
	v_cvt_f32_f64_e32 v0, v[0:1]
	v_mul_f32_e32 v1, v135, v9
	v_fmac_f32_e32 v1, v134, v8
	v_mul_f64 v[12:13], v[18:19], s[0:1]
	v_cvt_f64_f32_e32 v[18:19], v1
	v_mul_f32_e32 v1, v135, v8
	v_fma_f32 v1, v134, v9, -v1
	v_cvt_f64_f32_e32 v[7:8], v1
	v_mov_b32_e32 v24, s2
	s_mulk_i32 s5, 0xe320
	v_mov_b32_e32 v25, s2
	v_mul_f64 v[8:9], v[7:8], s[0:1]
	v_cvt_f32_f64_e32 v1, v[12:13]
	v_mul_f64 v[12:13], v[18:19], s[0:1]
	v_add_co_u32_e32 v18, vcc, s3, v5
	v_addc_co_u32_e32 v19, vcc, v6, v24, vcc
	ds_read2_b64 v[4:7], v4 offset0:8 offset1:74
	global_store_dwordx2 v[18:19], v[0:1], off
	v_cvt_f32_f64_e32 v1, v[8:9]
	v_mov_b32_e32 v24, 0xffffe320
	v_mad_u64_u32 v[18:19], s[6:7], s4, v24, v[18:19]
	s_waitcnt lgkmcnt(0)
	v_mul_f32_e32 v8, v154, v5
	v_fmac_f32_e32 v8, v153, v4
	v_cvt_f64_f32_e32 v[8:9], v8
	v_mul_f32_e32 v4, v154, v4
	v_fma_f32 v4, v153, v5, -v4
	v_cvt_f32_f64_e32 v0, v[12:13]
	v_mul_f64 v[8:9], v[8:9], s[0:1]
	v_cvt_f64_f32_e32 v[4:5], v4
	s_sub_i32 s6, s5, s4
	v_add_u32_e32 v19, s6, v19
	global_store_dwordx2 v[18:19], v[0:1], off
	v_mul_f64 v[0:1], v[4:5], s[0:1]
	v_mul_f32_e32 v5, v150, v15
	v_fmac_f32_e32 v5, v149, v14
	v_cvt_f32_f64_e32 v4, v[8:9]
	v_cvt_f64_f32_e32 v[8:9], v5
	v_mul_f32_e32 v5, v150, v14
	v_fma_f32 v5, v149, v15, -v5
	v_cvt_f64_f32_e32 v[12:13], v5
	v_cvt_f32_f64_e32 v5, v[0:1]
	v_mul_f64 v[0:1], v[8:9], s[0:1]
	v_add_co_u32_e32 v18, vcc, s3, v18
	v_mul_f64 v[8:9], v[12:13], s[0:1]
	ds_read2_b64 v[12:15], v3 offset0:148 offset1:214
	v_addc_co_u32_e32 v19, vcc, v19, v25, vcc
	global_store_dwordx2 v[18:19], v[4:5], off
	v_cvt_f32_f64_e32 v0, v[0:1]
	s_waitcnt lgkmcnt(0)
	v_mul_f32_e32 v3, v146, v13
	v_fmac_f32_e32 v3, v145, v12
	v_cvt_f64_f32_e32 v[3:4], v3
	v_cvt_f32_f64_e32 v1, v[8:9]
	v_mul_f32_e32 v8, v146, v12
	v_fma_f32 v8, v145, v13, -v8
	v_mul_f64 v[3:4], v[3:4], s[0:1]
	v_cvt_f64_f32_e32 v[8:9], v8
	v_mov_b32_e32 v5, s2
	v_add_co_u32_e32 v12, vcc, s3, v18
	v_addc_co_u32_e32 v13, vcc, v19, v5, vcc
	global_store_dwordx2 v[12:13], v[0:1], off
	v_mul_f64 v[0:1], v[8:9], s[0:1]
	v_cvt_f32_f64_e32 v4, v[3:4]
	v_mul_f32_e32 v3, v142, v21
	v_fmac_f32_e32 v3, v141, v20
	v_cvt_f64_f32_e32 v[8:9], v3
	v_mul_f32_e32 v3, v142, v20
	v_fma_f32 v3, v141, v21, -v3
	v_cvt_f64_f32_e32 v[18:19], v3
	v_cvt_f32_f64_e32 v5, v[0:1]
	ds_read2_b64 v[0:3], v2 offset0:32 offset1:98
	v_mov_b32_e32 v20, s2
	v_add_co_u32_e32 v12, vcc, s3, v12
	v_addc_co_u32_e32 v13, vcc, v13, v20, vcc
	global_store_dwordx2 v[12:13], v[4:5], off
	s_waitcnt lgkmcnt(0)
	v_mul_f32_e32 v4, v139, v1
	v_fmac_f32_e32 v4, v138, v0
	v_cvt_f64_f32_e32 v[4:5], v4
	v_mul_f32_e32 v0, v139, v0
	v_mul_f64 v[8:9], v[8:9], s[0:1]
	v_mul_f64 v[18:19], v[18:19], s[0:1]
	;; [unrolled: 1-line block ×3, first 2 shown]
	v_fma_f32 v0, v138, v1, -v0
	v_cvt_f64_f32_e32 v[0:1], v0
	v_add_co_u32_e32 v12, vcc, s3, v12
	v_mov_b32_e32 v21, s2
	v_mul_f64 v[0:1], v[0:1], s[0:1]
	v_cvt_f32_f64_e32 v8, v[8:9]
	v_cvt_f32_f64_e32 v4, v[4:5]
	v_mul_f32_e32 v5, v125, v11
	v_cvt_f32_f64_e32 v9, v[18:19]
	v_mov_b32_e32 v18, s2
	v_fmac_f32_e32 v5, v124, v10
	v_addc_co_u32_e32 v13, vcc, v13, v18, vcc
	v_cvt_f64_f32_e32 v[18:19], v5
	v_mul_f32_e32 v5, v125, v10
	v_fma_f32 v5, v124, v11, -v5
	v_cvt_f64_f32_e32 v[10:11], v5
	v_cvt_f32_f64_e32 v5, v[0:1]
	v_mul_f64 v[0:1], v[18:19], s[0:1]
	v_mul_f32_e32 v18, v133, v7
	v_fmac_f32_e32 v18, v132, v6
	v_mul_f32_e32 v6, v133, v6
	v_fma_f32 v6, v132, v7, -v6
	v_mul_f64 v[10:11], v[10:11], s[0:1]
	v_cvt_f64_f32_e32 v[6:7], v6
	v_cvt_f64_f32_e32 v[18:19], v18
	v_add_co_u32_e32 v20, vcc, s3, v12
	v_mul_f64 v[6:7], v[6:7], s[0:1]
	v_addc_co_u32_e32 v21, vcc, v13, v21, vcc
	v_mul_f64 v[18:19], v[18:19], s[0:1]
	v_mad_u64_u32 v[24:25], s[4:5], s4, v24, v[20:21]
	v_cvt_f32_f64_e32 v0, v[0:1]
	v_cvt_f32_f64_e32 v1, v[10:11]
	v_add_u32_e32 v25, s6, v25
	global_store_dwordx2 v[12:13], v[8:9], off
	global_store_dwordx2 v[20:21], v[4:5], off
	v_mul_f32_e32 v4, v137, v17
	global_store_dwordx2 v[24:25], v[0:1], off
	v_cvt_f32_f64_e32 v1, v[6:7]
	v_mul_f32_e32 v6, v137, v16
	v_fmac_f32_e32 v4, v136, v16
	v_fma_f32 v6, v136, v17, -v6
	v_cvt_f32_f64_e32 v0, v[18:19]
	v_cvt_f64_f32_e32 v[4:5], v4
	v_cvt_f64_f32_e32 v[6:7], v6
	v_mov_b32_e32 v9, s2
	v_add_co_u32_e32 v8, vcc, s3, v24
	v_addc_co_u32_e32 v9, vcc, v25, v9, vcc
	global_store_dwordx2 v[8:9], v[0:1], off
	v_mul_f64 v[0:1], v[4:5], s[0:1]
	v_mul_f64 v[4:5], v[6:7], s[0:1]
	v_mul_f32_e32 v6, v131, v15
	v_mul_f32_e32 v10, v131, v14
	v_fmac_f32_e32 v6, v130, v14
	v_fma_f32 v10, v130, v15, -v10
	v_cvt_f64_f32_e32 v[6:7], v6
	v_cvt_f64_f32_e32 v[10:11], v10
	v_cvt_f32_f64_e32 v0, v[0:1]
	v_cvt_f32_f64_e32 v1, v[4:5]
	v_mul_f64 v[4:5], v[6:7], s[0:1]
	v_mul_f64 v[6:7], v[10:11], s[0:1]
	v_mov_b32_e32 v10, s2
	v_add_co_u32_e32 v8, vcc, s3, v8
	v_addc_co_u32_e32 v9, vcc, v9, v10, vcc
	global_store_dwordx2 v[8:9], v[0:1], off
	v_cvt_f32_f64_e32 v0, v[4:5]
	v_cvt_f32_f64_e32 v1, v[6:7]
	v_mul_f32_e32 v4, v129, v23
	v_mul_f32_e32 v6, v129, v22
	v_fmac_f32_e32 v4, v128, v22
	v_fma_f32 v6, v128, v23, -v6
	v_cvt_f64_f32_e32 v[4:5], v4
	v_cvt_f64_f32_e32 v[6:7], v6
	v_add_co_u32_e32 v8, vcc, s3, v8
	v_addc_co_u32_e32 v9, vcc, v9, v10, vcc
	global_store_dwordx2 v[8:9], v[0:1], off
	v_mul_f64 v[0:1], v[4:5], s[0:1]
	v_mul_f64 v[4:5], v[6:7], s[0:1]
	v_mul_f32_e32 v6, v127, v3
	v_fmac_f32_e32 v6, v126, v2
	v_mul_f32_e32 v2, v127, v2
	v_fma_f32 v2, v126, v3, -v2
	v_cvt_f64_f32_e32 v[6:7], v6
	v_cvt_f64_f32_e32 v[2:3], v2
	v_cvt_f32_f64_e32 v0, v[0:1]
	v_cvt_f32_f64_e32 v1, v[4:5]
	v_mul_f64 v[4:5], v[6:7], s[0:1]
	v_mul_f64 v[2:3], v[2:3], s[0:1]
	v_mov_b32_e32 v7, s2
	v_add_co_u32_e32 v6, vcc, s3, v8
	v_addc_co_u32_e32 v7, vcc, v9, v7, vcc
	global_store_dwordx2 v[6:7], v[0:1], off
	v_cvt_f32_f64_e32 v0, v[4:5]
	v_cvt_f32_f64_e32 v1, v[2:3]
	v_mov_b32_e32 v3, s2
	v_add_co_u32_e32 v2, vcc, s3, v6
	v_addc_co_u32_e32 v3, vcc, v7, v3, vcc
	global_store_dwordx2 v[2:3], v[0:1], off
.LBB0_10:
	s_endpgm
	.section	.rodata,"a",@progbits
	.p2align	6, 0x0
	.amdhsa_kernel bluestein_single_back_len1188_dim1_sp_op_CI_CI
		.amdhsa_group_segment_fixed_size 28512
		.amdhsa_private_segment_fixed_size 0
		.amdhsa_kernarg_size 104
		.amdhsa_user_sgpr_count 6
		.amdhsa_user_sgpr_private_segment_buffer 1
		.amdhsa_user_sgpr_dispatch_ptr 0
		.amdhsa_user_sgpr_queue_ptr 0
		.amdhsa_user_sgpr_kernarg_segment_ptr 1
		.amdhsa_user_sgpr_dispatch_id 0
		.amdhsa_user_sgpr_flat_scratch_init 0
		.amdhsa_user_sgpr_private_segment_size 0
		.amdhsa_uses_dynamic_stack 0
		.amdhsa_system_sgpr_private_segment_wavefront_offset 0
		.amdhsa_system_sgpr_workgroup_id_x 1
		.amdhsa_system_sgpr_workgroup_id_y 0
		.amdhsa_system_sgpr_workgroup_id_z 0
		.amdhsa_system_sgpr_workgroup_info 0
		.amdhsa_system_vgpr_workitem_id 0
		.amdhsa_next_free_vgpr 225
		.amdhsa_next_free_sgpr 20
		.amdhsa_reserve_vcc 1
		.amdhsa_reserve_flat_scratch 0
		.amdhsa_float_round_mode_32 0
		.amdhsa_float_round_mode_16_64 0
		.amdhsa_float_denorm_mode_32 3
		.amdhsa_float_denorm_mode_16_64 3
		.amdhsa_dx10_clamp 1
		.amdhsa_ieee_mode 1
		.amdhsa_fp16_overflow 0
		.amdhsa_exception_fp_ieee_invalid_op 0
		.amdhsa_exception_fp_denorm_src 0
		.amdhsa_exception_fp_ieee_div_zero 0
		.amdhsa_exception_fp_ieee_overflow 0
		.amdhsa_exception_fp_ieee_underflow 0
		.amdhsa_exception_fp_ieee_inexact 0
		.amdhsa_exception_int_div_zero 0
	.end_amdhsa_kernel
	.text
.Lfunc_end0:
	.size	bluestein_single_back_len1188_dim1_sp_op_CI_CI, .Lfunc_end0-bluestein_single_back_len1188_dim1_sp_op_CI_CI
                                        ; -- End function
	.section	.AMDGPU.csdata,"",@progbits
; Kernel info:
; codeLenInByte = 21008
; NumSgprs: 24
; NumVgprs: 225
; ScratchSize: 0
; MemoryBound: 0
; FloatMode: 240
; IeeeMode: 1
; LDSByteSize: 28512 bytes/workgroup (compile time only)
; SGPRBlocks: 2
; VGPRBlocks: 56
; NumSGPRsForWavesPerEU: 24
; NumVGPRsForWavesPerEU: 225
; Occupancy: 1
; WaveLimiterHint : 1
; COMPUTE_PGM_RSRC2:SCRATCH_EN: 0
; COMPUTE_PGM_RSRC2:USER_SGPR: 6
; COMPUTE_PGM_RSRC2:TRAP_HANDLER: 0
; COMPUTE_PGM_RSRC2:TGID_X_EN: 1
; COMPUTE_PGM_RSRC2:TGID_Y_EN: 0
; COMPUTE_PGM_RSRC2:TGID_Z_EN: 0
; COMPUTE_PGM_RSRC2:TIDIG_COMP_CNT: 0
	.type	__hip_cuid_9cf2fb0cee70c2fc,@object ; @__hip_cuid_9cf2fb0cee70c2fc
	.section	.bss,"aw",@nobits
	.globl	__hip_cuid_9cf2fb0cee70c2fc
__hip_cuid_9cf2fb0cee70c2fc:
	.byte	0                               ; 0x0
	.size	__hip_cuid_9cf2fb0cee70c2fc, 1

	.ident	"AMD clang version 19.0.0git (https://github.com/RadeonOpenCompute/llvm-project roc-6.4.0 25133 c7fe45cf4b819c5991fe208aaa96edf142730f1d)"
	.section	".note.GNU-stack","",@progbits
	.addrsig
	.addrsig_sym __hip_cuid_9cf2fb0cee70c2fc
	.amdgpu_metadata
---
amdhsa.kernels:
  - .args:
      - .actual_access:  read_only
        .address_space:  global
        .offset:         0
        .size:           8
        .value_kind:     global_buffer
      - .actual_access:  read_only
        .address_space:  global
        .offset:         8
        .size:           8
        .value_kind:     global_buffer
      - .actual_access:  read_only
        .address_space:  global
        .offset:         16
        .size:           8
        .value_kind:     global_buffer
      - .actual_access:  read_only
        .address_space:  global
        .offset:         24
        .size:           8
        .value_kind:     global_buffer
      - .actual_access:  read_only
        .address_space:  global
        .offset:         32
        .size:           8
        .value_kind:     global_buffer
      - .offset:         40
        .size:           8
        .value_kind:     by_value
      - .address_space:  global
        .offset:         48
        .size:           8
        .value_kind:     global_buffer
      - .address_space:  global
        .offset:         56
        .size:           8
        .value_kind:     global_buffer
      - .address_space:  global
        .offset:         64
        .size:           8
        .value_kind:     global_buffer
      - .address_space:  global
        .offset:         72
        .size:           8
        .value_kind:     global_buffer
      - .offset:         80
        .size:           4
        .value_kind:     by_value
      - .address_space:  global
        .offset:         88
        .size:           8
        .value_kind:     global_buffer
      - .address_space:  global
        .offset:         96
        .size:           8
        .value_kind:     global_buffer
    .group_segment_fixed_size: 28512
    .kernarg_segment_align: 8
    .kernarg_segment_size: 104
    .language:       OpenCL C
    .language_version:
      - 2
      - 0
    .max_flat_workgroup_size: 198
    .name:           bluestein_single_back_len1188_dim1_sp_op_CI_CI
    .private_segment_fixed_size: 0
    .sgpr_count:     24
    .sgpr_spill_count: 0
    .symbol:         bluestein_single_back_len1188_dim1_sp_op_CI_CI.kd
    .uniform_work_group_size: 1
    .uses_dynamic_stack: false
    .vgpr_count:     225
    .vgpr_spill_count: 0
    .wavefront_size: 64
amdhsa.target:   amdgcn-amd-amdhsa--gfx906
amdhsa.version:
  - 1
  - 2
...

	.end_amdgpu_metadata
